;; amdgpu-corpus repo=pytorch/pytorch kind=compiled arch=gfx1030 opt=O3
	.amdgcn_target "amdgcn-amd-amdhsa--gfx1030"
	.amdhsa_code_object_version 6
	.section	.text._ZN2at6native12_GLOBAL__N_135nll_loss2d_forward_no_reduce_kernelIdEEvlN5torch10headeronly6detail27GenericPackedTensorAccessorINS5_14TensorAccessorIN3c108ArrayRefIlEET_Lm3ENS4_16DefaultPtrTraitsElEENS_6detail16IndexBoundsCheckILm4ElEESB_Lm4ESC_lEENS6_INS7_ISA_lLm2ESC_lEENSF_ILm3ElEElLm3ESC_lEENS6_INS7_ISA_SB_Lm2ESC_lEESJ_SB_Lm3ESC_lEEPKSB_l,"axG",@progbits,_ZN2at6native12_GLOBAL__N_135nll_loss2d_forward_no_reduce_kernelIdEEvlN5torch10headeronly6detail27GenericPackedTensorAccessorINS5_14TensorAccessorIN3c108ArrayRefIlEET_Lm3ENS4_16DefaultPtrTraitsElEENS_6detail16IndexBoundsCheckILm4ElEESB_Lm4ESC_lEENS6_INS7_ISA_lLm2ESC_lEENSF_ILm3ElEElLm3ESC_lEENS6_INS7_ISA_SB_Lm2ESC_lEESJ_SB_Lm3ESC_lEEPKSB_l,comdat
	.globl	_ZN2at6native12_GLOBAL__N_135nll_loss2d_forward_no_reduce_kernelIdEEvlN5torch10headeronly6detail27GenericPackedTensorAccessorINS5_14TensorAccessorIN3c108ArrayRefIlEET_Lm3ENS4_16DefaultPtrTraitsElEENS_6detail16IndexBoundsCheckILm4ElEESB_Lm4ESC_lEENS6_INS7_ISA_lLm2ESC_lEENSF_ILm3ElEElLm3ESC_lEENS6_INS7_ISA_SB_Lm2ESC_lEESJ_SB_Lm3ESC_lEEPKSB_l ; -- Begin function _ZN2at6native12_GLOBAL__N_135nll_loss2d_forward_no_reduce_kernelIdEEvlN5torch10headeronly6detail27GenericPackedTensorAccessorINS5_14TensorAccessorIN3c108ArrayRefIlEET_Lm3ENS4_16DefaultPtrTraitsElEENS_6detail16IndexBoundsCheckILm4ElEESB_Lm4ESC_lEENS6_INS7_ISA_lLm2ESC_lEENSF_ILm3ElEElLm3ESC_lEENS6_INS7_ISA_SB_Lm2ESC_lEESJ_SB_Lm3ESC_lEEPKSB_l
	.p2align	8
	.type	_ZN2at6native12_GLOBAL__N_135nll_loss2d_forward_no_reduce_kernelIdEEvlN5torch10headeronly6detail27GenericPackedTensorAccessorINS5_14TensorAccessorIN3c108ArrayRefIlEET_Lm3ENS4_16DefaultPtrTraitsElEENS_6detail16IndexBoundsCheckILm4ElEESB_Lm4ESC_lEENS6_INS7_ISA_lLm2ESC_lEENSF_ILm3ElEElLm3ESC_lEENS6_INS7_ISA_SB_Lm2ESC_lEESJ_SB_Lm3ESC_lEEPKSB_l,@function
_ZN2at6native12_GLOBAL__N_135nll_loss2d_forward_no_reduce_kernelIdEEvlN5torch10headeronly6detail27GenericPackedTensorAccessorINS5_14TensorAccessorIN3c108ArrayRefIlEET_Lm3ENS4_16DefaultPtrTraitsElEENS_6detail16IndexBoundsCheckILm4ElEESB_Lm4ESC_lEENS6_INS7_ISA_lLm2ESC_lEENSF_ILm3ElEElLm3ESC_lEENS6_INS7_ISA_SB_Lm2ESC_lEESJ_SB_Lm3ESC_lEEPKSB_l: ; @_ZN2at6native12_GLOBAL__N_135nll_loss2d_forward_no_reduce_kernelIdEEvlN5torch10headeronly6detail27GenericPackedTensorAccessorINS5_14TensorAccessorIN3c108ArrayRefIlEET_Lm3ENS4_16DefaultPtrTraitsElEENS_6detail16IndexBoundsCheckILm4ElEESB_Lm4ESC_lEENS6_INS7_ISA_lLm2ESC_lEENSF_ILm3ElEElLm3ESC_lEENS6_INS7_ISA_SB_Lm2ESC_lEESJ_SB_Lm3ESC_lEEPKSB_l
; %bb.0:
	s_clause 0x1
	s_load_dword s7, s[4:5], 0xdc
	s_load_dwordx2 s[2:3], s[4:5], 0x0
	v_mov_b32_e32 v2, 0
	s_add_u32 s0, s4, 0xd0
	s_addc_u32 s1, s5, 0
	v_mov_b32_e32 v1, v2
	s_waitcnt lgkmcnt(0)
	s_and_b32 s44, s7, 0xffff
	v_mad_u64_u32 v[0:1], null, s44, s6, v[0:1]
	s_mov_b32 s6, exec_lo
	v_cmpx_gt_i64_e64 s[2:3], v[0:1]
	s_cbranch_execz .LBB0_29
; %bb.1:
	s_clause 0x1
	s_load_dwordx8 s[8:15], s[4:5], 0x10
	s_load_dwordx4 s[36:39], s[4:5], 0xc0
	s_load_dword s0, s[0:1], 0x0
	s_clause 0x5
	s_load_dwordx2 s[34:35], s[4:5], 0x8
	s_load_dwordx8 s[16:23], s[4:5], 0x30
	s_load_dwordx2 s[40:41], s[4:5], 0x50
	s_load_dwordx8 s[24:31], s[4:5], 0x70
	s_load_dwordx2 s[42:43], s[4:5], 0xb8
	s_load_dwordx4 s[4:7], s[4:5], 0xa8
	s_mov_b32 s52, 0
                                        ; implicit-def: $sgpr54
                                        ; implicit-def: $sgpr55
	s_waitcnt lgkmcnt(0)
	v_cvt_f32_u32_e32 v3, s8
	s_mul_i32 s33, s12, s9
	s_mul_hi_u32 s45, s12, s8
	s_mul_i32 s46, s13, s8
	s_add_i32 s33, s45, s33
	v_rcp_iflag_f32_e32 v4, v3
	v_mov_b32_e32 v3, v0
	s_add_i32 s33, s33, s46
	s_cmp_lg_u64 s[36:37], 0
	s_mul_i32 s50, s0, s44
	s_mul_i32 s1, s12, s8
	s_cselect_b32 s51, -1, 0
	s_mov_b32 s53, s50
	s_ashr_i32 s44, s9, 31
	v_mul_f32_e32 v4, 0x4f7ffffe, v4
	v_cvt_u32_f32_e32 v14, v4
	v_mov_b32_e32 v5, v3
	v_mov_b32_e32 v4, v2
	s_branch .LBB0_3
.LBB0_2:                                ;   in Loop: Header=BB0_3 Depth=1
	s_or_b32 exec_lo, exec_lo, s46
	s_and_b32 s0, exec_lo, s45
	s_or_b32 s52, s0, s52
	s_andn2_b32 s0, s54, exec_lo
	s_and_b32 s45, s55, exec_lo
	s_or_b32 s54, s0, s45
	s_andn2_b32 exec_lo, exec_lo, s52
	s_cbranch_execz .LBB0_28
.LBB0_3:                                ; =>This Inner Loop Header: Depth=1
	v_ashrrev_i32_e32 v15, 31, v5
	v_mov_b32_e32 v16, v5
                                        ; implicit-def: $vgpr6_vgpr7
	s_mov_b32 s0, exec_lo
	v_or_b32_e32 v3, s9, v15
	v_ashrrev_i32_e32 v10, 31, v15
	v_cmpx_ne_u64_e32 0, v[2:3]
	s_xor_b32 s48, exec_lo, s0
	s_cbranch_execz .LBB0_5
; %bb.4:                                ;   in Loop: Header=BB0_3 Depth=1
	s_add_u32 s46, s8, s44
	s_mov_b32 s45, s44
	s_addc_u32 s47, s9, s44
	v_add_co_u32 v7, vcc_lo, v16, v10
	s_xor_b64 s[46:47], s[46:47], s[44:45]
	v_add_co_ci_u32_e64 v8, null, v15, v10, vcc_lo
	v_cvt_f32_u32_e32 v3, s46
	v_cvt_f32_u32_e32 v6, s47
	s_sub_u32 s49, 0, s46
	s_subb_u32 s56, 0, s47
	v_xor_b32_e32 v13, v8, v10
	v_fmac_f32_e32 v3, 0x4f800000, v6
	v_rcp_f32_e32 v3, v3
	v_mul_f32_e32 v3, 0x5f7ffffc, v3
	v_mul_f32_e32 v6, 0x2f800000, v3
	v_trunc_f32_e32 v6, v6
	v_fmac_f32_e32 v3, 0xcf800000, v6
	v_cvt_u32_f32_e32 v6, v6
	v_cvt_u32_f32_e32 v3, v3
	v_readfirstlane_b32 s0, v6
	v_readfirstlane_b32 s45, v3
	s_mul_i32 s57, s49, s0
	v_xor_b32_e32 v3, v7, v10
	s_mul_hi_u32 s59, s49, s45
	s_mul_i32 s58, s56, s45
	s_add_i32 s57, s59, s57
	s_mul_i32 s60, s49, s45
	s_add_i32 s57, s57, s58
	s_mul_hi_u32 s59, s45, s60
	s_mul_i32 s62, s45, s57
	s_mul_hi_u32 s61, s0, s60
	s_mul_i32 s58, s0, s60
	s_mul_hi_u32 s60, s45, s57
	s_add_u32 s59, s59, s62
	s_addc_u32 s60, 0, s60
	s_mul_hi_u32 s63, s0, s57
	s_add_u32 s58, s59, s58
	s_mul_i32 s57, s0, s57
	s_addc_u32 s58, s60, s61
	s_addc_u32 s59, s63, 0
	s_add_u32 s57, s58, s57
	s_addc_u32 s58, 0, s59
	s_add_u32 s45, s45, s57
	s_cselect_b32 s57, -1, 0
	s_mul_hi_u32 s59, s49, s45
	s_cmp_lg_u32 s57, 0
	s_mul_i32 s57, s49, s45
	s_addc_u32 s0, s0, s58
	s_mul_i32 s56, s56, s45
	s_mul_i32 s49, s49, s0
	s_mul_hi_u32 s58, s45, s57
	s_add_i32 s49, s59, s49
	s_mul_hi_u32 s59, s0, s57
	s_add_i32 s49, s49, s56
	s_mul_i32 s56, s0, s57
	s_mul_i32 s61, s45, s49
	s_mul_hi_u32 s60, s45, s49
	s_add_u32 s58, s58, s61
	s_addc_u32 s60, 0, s60
	s_mul_hi_u32 s57, s0, s49
	s_add_u32 s56, s58, s56
	s_mul_i32 s49, s0, s49
	s_addc_u32 s56, s60, s59
	s_addc_u32 s57, s57, 0
	s_add_u32 s49, s56, s49
	s_addc_u32 s56, 0, s57
	s_add_u32 s45, s45, s49
	s_cselect_b32 s49, -1, 0
	v_mul_hi_u32 v17, v3, s45
	s_cmp_lg_u32 s49, 0
	v_mad_u64_u32 v[8:9], null, v13, s45, 0
	s_addc_u32 s0, s0, s56
	v_mad_u64_u32 v[6:7], null, v3, s0, 0
	v_mad_u64_u32 v[11:12], null, v13, s0, 0
	v_add_co_u32 v6, vcc_lo, v17, v6
	v_add_co_ci_u32_e64 v7, null, 0, v7, vcc_lo
	v_add_co_u32 v6, vcc_lo, v6, v8
	v_add_co_ci_u32_e32 v6, vcc_lo, v7, v9, vcc_lo
	v_add_co_ci_u32_e32 v7, vcc_lo, 0, v12, vcc_lo
	v_add_co_u32 v8, vcc_lo, v6, v11
	v_add_co_ci_u32_e64 v9, null, 0, v7, vcc_lo
	v_mul_lo_u32 v11, s47, v8
	v_mad_u64_u32 v[6:7], null, s46, v8, 0
	v_mul_lo_u32 v12, s46, v9
	v_sub_co_u32 v3, vcc_lo, v3, v6
	v_add3_u32 v7, v7, v12, v11
	v_sub_nc_u32_e32 v11, v13, v7
	v_sub_co_ci_u32_e64 v7, null, v13, v7, vcc_lo
	v_subrev_co_ci_u32_e64 v6, null, s47, v11, vcc_lo
	v_add_co_u32 v11, s0, v8, 2
	v_add_co_ci_u32_e64 v12, null, 0, v9, s0
	v_sub_co_u32 v17, s0, v3, s46
	v_subrev_co_ci_u32_e64 v6, null, 0, v6, s0
	v_cmp_le_u32_e32 vcc_lo, s46, v17
	v_cndmask_b32_e64 v13, 0, -1, vcc_lo
	v_cmp_le_u32_e32 vcc_lo, s47, v6
	v_cndmask_b32_e64 v17, 0, -1, vcc_lo
	;; [unrolled: 2-line block ×4, first 2 shown]
	v_cmp_eq_u32_e32 vcc_lo, s47, v6
	v_cndmask_b32_e32 v6, v17, v13, vcc_lo
	v_add_co_u32 v13, vcc_lo, v8, 1
	v_add_co_ci_u32_e64 v17, null, 0, v9, vcc_lo
	v_cmp_eq_u32_e32 vcc_lo, s47, v7
	v_xor_b32_e32 v7, s44, v10
	v_cndmask_b32_e32 v3, v18, v3, vcc_lo
	v_cmp_ne_u32_e32 vcc_lo, 0, v6
	v_cmp_ne_u32_e64 s0, 0, v3
	v_cndmask_b32_e32 v3, v13, v11, vcc_lo
	v_cndmask_b32_e32 v6, v17, v12, vcc_lo
	v_cndmask_b32_e64 v3, v8, v3, s0
	v_cndmask_b32_e64 v6, v9, v6, s0
	v_xor_b32_e32 v3, v3, v7
	v_xor_b32_e32 v8, v6, v7
	v_sub_co_u32 v6, vcc_lo, v3, v7
	v_sub_co_ci_u32_e64 v7, null, v8, v7, vcc_lo
.LBB0_5:                                ;   in Loop: Header=BB0_3 Depth=1
	s_andn2_saveexec_b32 s0, s48
	s_cbranch_execz .LBB0_7
; %bb.6:                                ;   in Loop: Header=BB0_3 Depth=1
	s_sub_i32 s45, 0, s8
	v_mul_lo_u32 v3, s45, v14
	v_mul_hi_u32 v3, v14, v3
	v_add_nc_u32_e32 v3, v14, v3
	v_mul_hi_u32 v3, v16, v3
	v_mul_lo_u32 v6, v3, s8
	v_add_nc_u32_e32 v7, 1, v3
	v_sub_nc_u32_e32 v6, v16, v6
	v_subrev_nc_u32_e32 v8, s8, v6
	v_cmp_le_u32_e32 vcc_lo, s8, v6
	v_cndmask_b32_e32 v6, v6, v8, vcc_lo
	v_cndmask_b32_e32 v3, v3, v7, vcc_lo
	v_cmp_le_u32_e32 vcc_lo, s8, v6
	v_add_nc_u32_e32 v7, 1, v3
	v_cndmask_b32_e32 v6, v3, v7, vcc_lo
	v_mov_b32_e32 v7, v2
.LBB0_7:                                ;   in Loop: Header=BB0_3 Depth=1
	s_or_b32 exec_lo, exec_lo, s0
	v_or_b32_e32 v3, s13, v7
                                        ; implicit-def: $vgpr8_vgpr9
	s_mov_b32 s0, exec_lo
	v_cmpx_ne_u64_e32 0, v[2:3]
	s_xor_b32 s45, exec_lo, s0
	s_cbranch_execz .LBB0_9
; %bb.8:                                ;   in Loop: Header=BB0_3 Depth=1
	s_ashr_i32 s46, s13, 31
	v_ashrrev_i32_e32 v13, 31, v7
	s_add_u32 s48, s12, s46
	s_mov_b32 s47, s46
	s_addc_u32 s49, s13, s46
	s_xor_b64 s[46:47], s[48:49], s[46:47]
	v_add_co_u32 v9, vcc_lo, v6, v13
	v_cvt_f32_u32_e32 v3, s46
	v_cvt_f32_u32_e32 v8, s47
	s_sub_u32 s49, 0, s46
	s_subb_u32 s56, 0, s47
	v_add_co_ci_u32_e64 v11, null, v7, v13, vcc_lo
	v_fmac_f32_e32 v3, 0x4f800000, v8
	v_xor_b32_e32 v19, v11, v13
	v_rcp_f32_e32 v3, v3
	v_mul_f32_e32 v3, 0x5f7ffffc, v3
	v_mul_f32_e32 v8, 0x2f800000, v3
	v_trunc_f32_e32 v8, v8
	v_fmac_f32_e32 v3, 0xcf800000, v8
	v_cvt_u32_f32_e32 v8, v8
	v_cvt_u32_f32_e32 v3, v3
	v_readfirstlane_b32 s0, v8
	v_readfirstlane_b32 s48, v3
	s_mul_i32 s57, s49, s0
	v_xor_b32_e32 v3, v9, v13
	s_mul_hi_u32 s59, s49, s48
	s_mul_i32 s58, s56, s48
	s_add_i32 s57, s59, s57
	s_mul_i32 s60, s49, s48
	s_add_i32 s57, s57, s58
	s_mul_hi_u32 s59, s48, s60
	s_mul_i32 s62, s48, s57
	s_mul_hi_u32 s61, s0, s60
	s_mul_i32 s58, s0, s60
	s_mul_hi_u32 s60, s48, s57
	s_add_u32 s59, s59, s62
	s_addc_u32 s60, 0, s60
	s_mul_hi_u32 s63, s0, s57
	s_add_u32 s58, s59, s58
	s_mul_i32 s57, s0, s57
	s_addc_u32 s58, s60, s61
	s_addc_u32 s59, s63, 0
	s_add_u32 s57, s58, s57
	s_addc_u32 s58, 0, s59
	s_add_u32 s48, s48, s57
	s_cselect_b32 s57, -1, 0
	s_mul_hi_u32 s59, s49, s48
	s_cmp_lg_u32 s57, 0
	s_mul_i32 s57, s49, s48
	s_addc_u32 s0, s0, s58
	s_mul_i32 s56, s56, s48
	s_mul_i32 s49, s49, s0
	s_mul_hi_u32 s58, s48, s57
	s_add_i32 s49, s59, s49
	s_mul_hi_u32 s59, s0, s57
	s_add_i32 s49, s49, s56
	s_mul_i32 s56, s0, s57
	s_mul_i32 s61, s48, s49
	s_mul_hi_u32 s60, s48, s49
	s_add_u32 s58, s58, s61
	s_addc_u32 s60, 0, s60
	s_mul_hi_u32 s57, s0, s49
	s_add_u32 s56, s58, s56
	s_mul_i32 s49, s0, s49
	s_addc_u32 s56, s60, s59
	s_addc_u32 s57, s57, 0
	s_add_u32 s49, s56, s49
	s_addc_u32 s56, 0, s57
	s_add_u32 s48, s48, s49
	s_cselect_b32 s49, -1, 0
	v_mul_hi_u32 v20, v3, s48
	s_cmp_lg_u32 s49, 0
	v_mad_u64_u32 v[11:12], null, v19, s48, 0
	s_addc_u32 s0, s0, s56
	v_mad_u64_u32 v[8:9], null, v3, s0, 0
	v_mad_u64_u32 v[17:18], null, v19, s0, 0
	v_add_co_u32 v8, vcc_lo, v20, v8
	v_add_co_ci_u32_e64 v9, null, 0, v9, vcc_lo
	v_add_co_u32 v8, vcc_lo, v8, v11
	v_add_co_ci_u32_e32 v8, vcc_lo, v9, v12, vcc_lo
	v_add_co_ci_u32_e32 v9, vcc_lo, 0, v18, vcc_lo
	v_add_co_u32 v8, vcc_lo, v8, v17
	v_add_co_ci_u32_e64 v11, null, 0, v9, vcc_lo
	v_mul_lo_u32 v12, s47, v8
	v_mad_u64_u32 v[8:9], null, s46, v8, 0
	v_mul_lo_u32 v11, s46, v11
	v_sub_co_u32 v3, vcc_lo, v3, v8
	v_add3_u32 v9, v9, v11, v12
	v_cmp_le_u32_e64 s0, s46, v3
	v_sub_nc_u32_e32 v11, v19, v9
	v_sub_co_ci_u32_e64 v9, null, v19, v9, vcc_lo
	v_cndmask_b32_e64 v17, 0, -1, s0
	v_subrev_co_ci_u32_e64 v8, null, s47, v11, vcc_lo
	v_sub_co_u32 v11, vcc_lo, v3, s46
	v_subrev_co_ci_u32_e64 v12, null, 0, v8, vcc_lo
	v_cmp_le_u32_e64 s0, s46, v11
	v_subrev_co_ci_u32_e64 v8, null, s47, v8, vcc_lo
	v_cmp_le_u32_e32 vcc_lo, s47, v9
	v_cndmask_b32_e64 v18, 0, -1, s0
	v_cmp_le_u32_e64 s0, s47, v12
	v_cndmask_b32_e64 v20, 0, -1, vcc_lo
	v_cmp_eq_u32_e32 vcc_lo, s47, v12
	v_cndmask_b32_e64 v19, 0, -1, s0
	v_cmp_eq_u32_e64 s0, s47, v9
	v_cndmask_b32_e32 v18, v19, v18, vcc_lo
	v_sub_co_u32 v19, vcc_lo, v11, s46
	v_subrev_co_ci_u32_e64 v8, null, 0, v8, vcc_lo
	v_cmp_ne_u32_e32 vcc_lo, 0, v18
	v_cndmask_b32_e64 v17, v20, v17, s0
	v_cndmask_b32_e32 v8, v12, v8, vcc_lo
	v_cndmask_b32_e32 v11, v11, v19, vcc_lo
	v_cmp_ne_u32_e32 vcc_lo, 0, v17
	v_cndmask_b32_e32 v3, v3, v11, vcc_lo
	v_cndmask_b32_e32 v8, v9, v8, vcc_lo
	v_xor_b32_e32 v3, v3, v13
	v_xor_b32_e32 v9, v8, v13
	v_sub_co_u32 v8, vcc_lo, v3, v13
	v_sub_co_ci_u32_e64 v9, null, v9, v13, vcc_lo
.LBB0_9:                                ;   in Loop: Header=BB0_3 Depth=1
	s_andn2_saveexec_b32 s0, s45
	s_cbranch_execz .LBB0_11
; %bb.10:                               ;   in Loop: Header=BB0_3 Depth=1
	v_cvt_f32_u32_e32 v3, s12
	s_sub_i32 s45, 0, s12
	v_mov_b32_e32 v9, v2
	v_rcp_iflag_f32_e32 v3, v3
	v_mul_f32_e32 v3, 0x4f7ffffe, v3
	v_cvt_u32_f32_e32 v3, v3
	v_mul_lo_u32 v8, s45, v3
	v_mul_hi_u32 v8, v3, v8
	v_add_nc_u32_e32 v3, v3, v8
	v_mul_hi_u32 v3, v6, v3
	v_mul_lo_u32 v3, v3, s12
	v_sub_nc_u32_e32 v3, v6, v3
	v_subrev_nc_u32_e32 v8, s12, v3
	v_cmp_le_u32_e32 vcc_lo, s12, v3
	v_cndmask_b32_e32 v3, v3, v8, vcc_lo
	v_subrev_nc_u32_e32 v8, s12, v3
	v_cmp_le_u32_e32 vcc_lo, s12, v3
	v_cndmask_b32_e32 v8, v3, v8, vcc_lo
.LBB0_11:                               ;   in Loop: Header=BB0_3 Depth=1
	s_or_b32 exec_lo, exec_lo, s0
	v_or_b32_e32 v3, s33, v15
                                        ; implicit-def: $vgpr12_vgpr13
	s_mov_b32 s0, exec_lo
	v_cmpx_ne_u64_e32 0, v[2:3]
	s_xor_b32 s45, exec_lo, s0
	s_cbranch_execz .LBB0_13
; %bb.12:                               ;   in Loop: Header=BB0_3 Depth=1
	s_ashr_i32 s46, s33, 31
	v_add_co_u32 v12, vcc_lo, v16, v10
	s_add_u32 s48, s1, s46
	s_mov_b32 s47, s46
	s_addc_u32 s49, s33, s46
	v_add_co_ci_u32_e64 v13, null, v15, v10, vcc_lo
	s_xor_b64 s[48:49], s[48:49], s[46:47]
	v_cvt_f32_u32_e32 v3, s48
	v_cvt_f32_u32_e32 v11, s49
	s_sub_u32 s56, 0, s48
	s_subb_u32 s57, 0, s49
	v_xor_b32_e32 v13, v13, v10
	v_fmac_f32_e32 v3, 0x4f800000, v11
	v_rcp_f32_e32 v3, v3
	v_mul_f32_e32 v3, 0x5f7ffffc, v3
	v_mul_f32_e32 v11, 0x2f800000, v3
	v_trunc_f32_e32 v11, v11
	v_fmac_f32_e32 v3, 0xcf800000, v11
	v_cvt_u32_f32_e32 v11, v11
	v_cvt_u32_f32_e32 v3, v3
	v_readfirstlane_b32 s0, v11
	v_readfirstlane_b32 s47, v3
	s_mul_i32 s58, s56, s0
	v_xor_b32_e32 v3, v12, v10
	v_xor_b32_e32 v10, s46, v10
	s_mul_hi_u32 s60, s56, s47
	s_mul_i32 s59, s57, s47
	s_add_i32 s58, s60, s58
	s_mul_i32 s61, s56, s47
	s_add_i32 s58, s58, s59
	s_mul_hi_u32 s60, s47, s61
	s_mul_i32 s63, s47, s58
	s_mul_hi_u32 s62, s0, s61
	s_mul_i32 s59, s0, s61
	s_mul_hi_u32 s61, s47, s58
	s_add_u32 s60, s60, s63
	s_addc_u32 s61, 0, s61
	s_mul_hi_u32 s64, s0, s58
	s_add_u32 s59, s60, s59
	s_mul_i32 s58, s0, s58
	s_addc_u32 s59, s61, s62
	s_addc_u32 s60, s64, 0
	s_add_u32 s58, s59, s58
	s_addc_u32 s59, 0, s60
	s_add_u32 s47, s47, s58
	s_cselect_b32 s58, -1, 0
	s_mul_hi_u32 s60, s56, s47
	s_cmp_lg_u32 s58, 0
	s_mul_i32 s58, s56, s47
	s_addc_u32 s0, s0, s59
	s_mul_i32 s57, s57, s47
	s_mul_i32 s56, s56, s0
	s_mul_hi_u32 s59, s47, s58
	s_add_i32 s56, s60, s56
	s_mul_hi_u32 s60, s0, s58
	s_add_i32 s56, s56, s57
	s_mul_i32 s57, s0, s58
	s_mul_i32 s62, s47, s56
	s_mul_hi_u32 s61, s47, s56
	s_add_u32 s59, s59, s62
	s_addc_u32 s61, 0, s61
	s_mul_hi_u32 s58, s0, s56
	s_add_u32 s57, s59, s57
	s_mul_i32 s56, s0, s56
	s_addc_u32 s57, s61, s60
	s_addc_u32 s58, s58, 0
	s_add_u32 s56, s57, s56
	s_addc_u32 s57, 0, s58
	s_add_u32 s47, s47, s56
	s_cselect_b32 s56, -1, 0
	v_mul_hi_u32 v21, v3, s47
	s_cmp_lg_u32 s56, 0
	v_mad_u64_u32 v[17:18], null, v13, s47, 0
	s_addc_u32 s0, s0, s57
	v_mad_u64_u32 v[11:12], null, v3, s0, 0
	v_mad_u64_u32 v[19:20], null, v13, s0, 0
	v_add_co_u32 v11, vcc_lo, v21, v11
	v_add_co_ci_u32_e64 v12, null, 0, v12, vcc_lo
	v_add_co_u32 v11, vcc_lo, v11, v17
	v_add_co_ci_u32_e32 v11, vcc_lo, v12, v18, vcc_lo
	v_add_co_ci_u32_e32 v12, vcc_lo, 0, v20, vcc_lo
	v_add_co_u32 v17, vcc_lo, v11, v19
	v_add_co_ci_u32_e64 v18, null, 0, v12, vcc_lo
	v_mul_lo_u32 v19, s49, v17
	v_mad_u64_u32 v[11:12], null, s48, v17, 0
	v_mul_lo_u32 v20, s48, v18
	v_sub_co_u32 v3, vcc_lo, v3, v11
	v_add3_u32 v12, v12, v20, v19
	v_sub_nc_u32_e32 v19, v13, v12
	v_sub_co_ci_u32_e64 v12, null, v13, v12, vcc_lo
	v_subrev_co_ci_u32_e64 v11, null, s49, v19, vcc_lo
	v_add_co_u32 v19, s0, v17, 2
	v_add_co_ci_u32_e64 v20, null, 0, v18, s0
	v_sub_co_u32 v21, s0, v3, s48
	v_subrev_co_ci_u32_e64 v11, null, 0, v11, s0
	v_cmp_le_u32_e32 vcc_lo, s48, v21
	v_cndmask_b32_e64 v13, 0, -1, vcc_lo
	v_cmp_le_u32_e32 vcc_lo, s49, v11
	v_cndmask_b32_e64 v21, 0, -1, vcc_lo
	;; [unrolled: 2-line block ×4, first 2 shown]
	v_cmp_eq_u32_e32 vcc_lo, s49, v11
	v_cndmask_b32_e32 v11, v21, v13, vcc_lo
	v_add_co_u32 v13, vcc_lo, v17, 1
	v_add_co_ci_u32_e64 v21, null, 0, v18, vcc_lo
	v_cmp_eq_u32_e32 vcc_lo, s49, v12
	v_cndmask_b32_e32 v3, v22, v3, vcc_lo
	v_cmp_ne_u32_e32 vcc_lo, 0, v11
	v_cmp_ne_u32_e64 s0, 0, v3
	v_cndmask_b32_e32 v3, v13, v19, vcc_lo
	v_cndmask_b32_e32 v11, v21, v20, vcc_lo
	v_cndmask_b32_e64 v3, v17, v3, s0
	v_cndmask_b32_e64 v11, v18, v11, s0
	v_xor_b32_e32 v3, v3, v10
	v_xor_b32_e32 v11, v11, v10
	v_sub_co_u32 v12, vcc_lo, v3, v10
	v_sub_co_ci_u32_e64 v13, null, v11, v10, vcc_lo
.LBB0_13:                               ;   in Loop: Header=BB0_3 Depth=1
	s_andn2_saveexec_b32 s0, s45
	s_cbranch_execz .LBB0_15
; %bb.14:                               ;   in Loop: Header=BB0_3 Depth=1
	v_cvt_f32_u32_e32 v3, s1
	s_sub_i32 s45, 0, s1
	v_mov_b32_e32 v13, v2
	v_rcp_iflag_f32_e32 v3, v3
	v_mul_f32_e32 v3, 0x4f7ffffe, v3
	v_cvt_u32_f32_e32 v3, v3
	v_mul_lo_u32 v10, s45, v3
	v_mul_hi_u32 v10, v3, v10
	v_add_nc_u32_e32 v3, v3, v10
	v_mul_hi_u32 v3, v5, v3
	v_mul_lo_u32 v10, v3, s1
	v_add_nc_u32_e32 v11, 1, v3
	v_sub_nc_u32_e32 v10, v5, v10
	v_subrev_nc_u32_e32 v12, s1, v10
	v_cmp_le_u32_e32 vcc_lo, s1, v10
	v_cndmask_b32_e32 v10, v10, v12, vcc_lo
	v_cndmask_b32_e32 v3, v3, v11, vcc_lo
	v_cmp_le_u32_e32 vcc_lo, s1, v10
	v_add_nc_u32_e32 v11, 1, v3
	v_cndmask_b32_e32 v12, v3, v11, vcc_lo
.LBB0_15:                               ;   in Loop: Header=BB0_3 Depth=1
	s_or_b32 exec_lo, exec_lo, s0
	v_or_b32_e32 v3, s15, v13
                                        ; implicit-def: $vgpr10_vgpr11
	s_mov_b32 s0, exec_lo
	v_cmpx_ne_u64_e32 0, v[2:3]
	s_xor_b32 s45, exec_lo, s0
	s_cbranch_execz .LBB0_17
; %bb.16:                               ;   in Loop: Header=BB0_3 Depth=1
	s_ashr_i32 s46, s15, 31
	v_ashrrev_i32_e32 v19, 31, v13
	s_add_u32 s48, s14, s46
	s_mov_b32 s47, s46
	s_addc_u32 s49, s15, s46
	s_xor_b64 s[46:47], s[48:49], s[46:47]
	v_add_co_u32 v11, vcc_lo, v12, v19
	v_cvt_f32_u32_e32 v3, s46
	v_cvt_f32_u32_e32 v10, s47
	s_sub_u32 s49, 0, s46
	s_subb_u32 s56, 0, s47
	v_add_co_ci_u32_e64 v12, null, v13, v19, vcc_lo
	v_fmac_f32_e32 v3, 0x4f800000, v10
	v_xor_b32_e32 v20, v12, v19
	v_rcp_f32_e32 v3, v3
	v_mul_f32_e32 v3, 0x5f7ffffc, v3
	v_mul_f32_e32 v10, 0x2f800000, v3
	v_trunc_f32_e32 v10, v10
	v_fmac_f32_e32 v3, 0xcf800000, v10
	v_cvt_u32_f32_e32 v10, v10
	v_cvt_u32_f32_e32 v3, v3
	v_readfirstlane_b32 s0, v10
	v_readfirstlane_b32 s48, v3
	s_mul_i32 s57, s49, s0
	v_xor_b32_e32 v3, v11, v19
	s_mul_hi_u32 s59, s49, s48
	s_mul_i32 s58, s56, s48
	s_add_i32 s57, s59, s57
	s_mul_i32 s60, s49, s48
	s_add_i32 s57, s57, s58
	s_mul_hi_u32 s59, s48, s60
	s_mul_i32 s62, s48, s57
	s_mul_hi_u32 s61, s0, s60
	s_mul_i32 s58, s0, s60
	s_mul_hi_u32 s60, s48, s57
	s_add_u32 s59, s59, s62
	s_addc_u32 s60, 0, s60
	s_mul_hi_u32 s63, s0, s57
	s_add_u32 s58, s59, s58
	s_mul_i32 s57, s0, s57
	s_addc_u32 s58, s60, s61
	s_addc_u32 s59, s63, 0
	s_add_u32 s57, s58, s57
	s_addc_u32 s58, 0, s59
	s_add_u32 s48, s48, s57
	s_cselect_b32 s57, -1, 0
	s_mul_hi_u32 s59, s49, s48
	s_cmp_lg_u32 s57, 0
	s_mul_i32 s57, s49, s48
	s_addc_u32 s0, s0, s58
	s_mul_i32 s56, s56, s48
	s_mul_i32 s49, s49, s0
	s_mul_hi_u32 s58, s48, s57
	s_add_i32 s49, s59, s49
	s_mul_hi_u32 s59, s0, s57
	s_add_i32 s49, s49, s56
	s_mul_i32 s56, s0, s57
	s_mul_i32 s61, s48, s49
	s_mul_hi_u32 s60, s48, s49
	s_add_u32 s58, s58, s61
	s_addc_u32 s60, 0, s60
	s_mul_hi_u32 s57, s0, s49
	s_add_u32 s56, s58, s56
	s_mul_i32 s49, s0, s49
	s_addc_u32 s56, s60, s59
	s_addc_u32 s57, s57, 0
	s_add_u32 s49, s56, s49
	s_addc_u32 s56, 0, s57
	s_add_u32 s48, s48, s49
	s_cselect_b32 s49, -1, 0
	v_mul_hi_u32 v21, v3, s48
	s_cmp_lg_u32 s49, 0
	v_mad_u64_u32 v[12:13], null, v20, s48, 0
	s_addc_u32 s0, s0, s56
	v_mad_u64_u32 v[10:11], null, v3, s0, 0
	v_mad_u64_u32 v[17:18], null, v20, s0, 0
	v_add_co_u32 v10, vcc_lo, v21, v10
	v_add_co_ci_u32_e64 v11, null, 0, v11, vcc_lo
	v_add_co_u32 v10, vcc_lo, v10, v12
	v_add_co_ci_u32_e32 v10, vcc_lo, v11, v13, vcc_lo
	v_add_co_ci_u32_e32 v11, vcc_lo, 0, v18, vcc_lo
	v_add_co_u32 v10, vcc_lo, v10, v17
	v_add_co_ci_u32_e64 v12, null, 0, v11, vcc_lo
	v_mul_lo_u32 v13, s47, v10
	v_mad_u64_u32 v[10:11], null, s46, v10, 0
	v_mul_lo_u32 v12, s46, v12
	v_sub_co_u32 v3, vcc_lo, v3, v10
	v_add3_u32 v11, v11, v12, v13
	v_cmp_le_u32_e64 s0, s46, v3
	v_sub_nc_u32_e32 v12, v20, v11
	v_sub_co_ci_u32_e64 v11, null, v20, v11, vcc_lo
	v_cndmask_b32_e64 v17, 0, -1, s0
	v_subrev_co_ci_u32_e64 v10, null, s47, v12, vcc_lo
	v_sub_co_u32 v12, vcc_lo, v3, s46
	v_subrev_co_ci_u32_e64 v13, null, 0, v10, vcc_lo
	v_cmp_le_u32_e64 s0, s46, v12
	v_subrev_co_ci_u32_e64 v10, null, s47, v10, vcc_lo
	v_cmp_le_u32_e32 vcc_lo, s47, v11
	v_cndmask_b32_e64 v18, 0, -1, s0
	v_cmp_le_u32_e64 s0, s47, v13
	v_cndmask_b32_e64 v21, 0, -1, vcc_lo
	v_cmp_eq_u32_e32 vcc_lo, s47, v13
	v_cndmask_b32_e64 v20, 0, -1, s0
	v_cmp_eq_u32_e64 s0, s47, v11
	v_cndmask_b32_e32 v18, v20, v18, vcc_lo
	v_sub_co_u32 v20, vcc_lo, v12, s46
	v_subrev_co_ci_u32_e64 v10, null, 0, v10, vcc_lo
	v_cmp_ne_u32_e32 vcc_lo, 0, v18
	v_cndmask_b32_e64 v17, v21, v17, s0
	v_cndmask_b32_e32 v10, v13, v10, vcc_lo
	v_cndmask_b32_e32 v12, v12, v20, vcc_lo
	v_cmp_ne_u32_e32 vcc_lo, 0, v17
	v_cndmask_b32_e32 v3, v3, v12, vcc_lo
	v_cndmask_b32_e32 v10, v11, v10, vcc_lo
                                        ; implicit-def: $vgpr12_vgpr13
	v_xor_b32_e32 v3, v3, v19
	v_xor_b32_e32 v11, v10, v19
	v_sub_co_u32 v10, vcc_lo, v3, v19
	v_sub_co_ci_u32_e64 v11, null, v11, v19, vcc_lo
.LBB0_17:                               ;   in Loop: Header=BB0_3 Depth=1
	s_andn2_saveexec_b32 s0, s45
	s_cbranch_execz .LBB0_19
; %bb.18:                               ;   in Loop: Header=BB0_3 Depth=1
	v_cvt_f32_u32_e32 v3, s14
	s_sub_i32 s45, 0, s14
	v_mov_b32_e32 v11, v2
	v_rcp_iflag_f32_e32 v3, v3
	v_mul_f32_e32 v3, 0x4f7ffffe, v3
	v_cvt_u32_f32_e32 v3, v3
	v_mul_lo_u32 v10, s45, v3
	v_mul_hi_u32 v10, v3, v10
	v_add_nc_u32_e32 v3, v3, v10
	v_mul_hi_u32 v3, v12, v3
	v_mul_lo_u32 v3, v3, s14
	v_sub_nc_u32_e32 v3, v12, v3
	v_subrev_nc_u32_e32 v10, s14, v3
	v_cmp_le_u32_e32 vcc_lo, s14, v3
	v_cndmask_b32_e32 v3, v3, v10, vcc_lo
	v_subrev_nc_u32_e32 v10, s14, v3
	v_cmp_le_u32_e32 vcc_lo, s14, v3
	v_cndmask_b32_e32 v10, v3, v10, vcc_lo
.LBB0_19:                               ;   in Loop: Header=BB0_3 Depth=1
	s_or_b32 exec_lo, exec_lo, s0
	v_mul_lo_u32 v3, v7, s8
	v_mul_lo_u32 v12, v6, s9
	v_mad_u64_u32 v[6:7], null, v6, s8, 0
	v_mul_lo_u32 v18, s27, v8
	v_mul_lo_u32 v21, s26, v9
	;; [unrolled: 1-line block ×4, first 2 shown]
	s_mov_b32 s45, -1
	s_mov_b32 s0, -1
	v_add3_u32 v7, v7, v12, v3
	v_sub_co_u32 v3, vcc_lo, v16, v6
	v_mad_u64_u32 v[12:13], null, s26, v8, 0
	v_sub_co_ci_u32_e64 v15, null, v15, v7, vcc_lo
	v_mul_lo_u32 v19, s25, v3
	v_mad_u64_u32 v[6:7], null, s24, v3, 0
	v_mul_lo_u32 v20, s24, v15
	v_mad_u64_u32 v[16:17], null, s28, v10, 0
	v_add3_u32 v13, v13, v21, v18
	s_mov_b32 s46, exec_lo
	v_lshlrev_b64 v[12:13], 3, v[12:13]
	v_add3_u32 v7, v7, v20, v19
	v_add3_u32 v17, v17, v23, v22
	v_lshlrev_b64 v[6:7], 3, v[6:7]
	v_add_co_u32 v18, vcc_lo, s40, v6
	v_add_co_ci_u32_e64 v19, null, s41, v7, vcc_lo
	v_lshlrev_b64 v[6:7], 3, v[16:17]
	v_add_co_u32 v12, vcc_lo, v18, v12
	v_add_co_ci_u32_e64 v13, null, v19, v13, vcc_lo
	v_add_co_u32 v6, vcc_lo, v12, v6
	v_add_co_ci_u32_e64 v7, null, v13, v7, vcc_lo
	global_load_dwordx2 v[12:13], v[6:7], off
	v_mov_b32_e32 v6, 0
	v_mov_b32_e32 v7, 0
	s_waitcnt vmcnt(0)
	v_cmpx_ne_u64_e64 s[38:39], v[12:13]
	s_cbranch_execz .LBB0_26
; %bb.20:                               ;   in Loop: Header=BB0_3 Depth=1
	v_cmp_lt_i64_e32 vcc_lo, -1, v[12:13]
	v_cmp_gt_i64_e64 s0, s[10:11], v[12:13]
	v_mov_b32_e32 v6, 0
	v_mov_b32_e32 v7, 0
	s_mov_b32 s47, 0
	s_and_b32 s48, vcc_lo, s0
	s_and_saveexec_b32 s0, s48
	s_cbranch_execz .LBB0_25
; %bb.21:                               ;   in Loop: Header=BB0_3 Depth=1
	v_mul_lo_u32 v18, s17, v3
	v_mul_lo_u32 v19, s16, v15
	v_mad_u64_u32 v[6:7], null, s16, v3, 0
	v_mul_lo_u32 v20, s19, v12
	v_mul_lo_u32 v21, s18, v13
	v_mad_u64_u32 v[16:17], null, s18, v12, 0
	v_mul_lo_u32 v22, s21, v8
	v_mul_lo_u32 v23, s20, v9
	v_add3_u32 v7, v7, v19, v18
	v_mad_u64_u32 v[18:19], null, s20, v8, 0
	v_mul_lo_u32 v24, s23, v10
	v_add3_u32 v17, v17, v21, v20
	v_lshlrev_b64 v[6:7], 3, v[6:7]
	v_mul_lo_u32 v25, s22, v11
	v_mad_u64_u32 v[20:21], null, s22, v10, 0
	v_lshlrev_b64 v[16:17], 3, v[16:17]
	v_add3_u32 v19, v19, v23, v22
	v_add_co_u32 v22, vcc_lo, s34, v6
	v_add_co_ci_u32_e64 v23, null, s35, v7, vcc_lo
	v_lshlrev_b64 v[6:7], 3, v[18:19]
	v_add3_u32 v21, v21, v25, v24
	v_add_co_u32 v18, vcc_lo, v22, v16
	v_add_co_ci_u32_e64 v19, null, v23, v17, vcc_lo
	v_lshlrev_b64 v[16:17], 3, v[20:21]
	v_add_co_u32 v6, vcc_lo, v18, v6
	v_add_co_ci_u32_e64 v7, null, v19, v7, vcc_lo
	v_add_co_u32 v6, vcc_lo, v6, v16
	v_add_co_ci_u32_e64 v7, null, v7, v17, vcc_lo
	s_andn2_b32 vcc_lo, exec_lo, s51
	global_load_dwordx2 v[6:7], v[6:7], off
	s_cbranch_vccnz .LBB0_23
; %bb.22:                               ;   in Loop: Header=BB0_3 Depth=1
	v_lshlrev_b64 v[12:13], 3, v[12:13]
	v_add_co_u32 v12, vcc_lo, s36, v12
	v_add_co_ci_u32_e64 v13, null, s37, v13, vcc_lo
	global_load_dwordx2 v[12:13], v[12:13], off
	s_branch .LBB0_24
.LBB0_23:                               ;   in Loop: Header=BB0_3 Depth=1
	v_mov_b32_e32 v12, 0
	v_mov_b32_e32 v13, 0x3ff00000
.LBB0_24:                               ;   in Loop: Header=BB0_3 Depth=1
	s_mov_b32 s47, exec_lo
	s_waitcnt vmcnt(0)
	v_mul_f64 v[6:7], v[12:13], -v[6:7]
.LBB0_25:                               ;   in Loop: Header=BB0_3 Depth=1
	s_or_b32 exec_lo, exec_lo, s0
	s_orn2_b32 s0, s47, exec_lo
.LBB0_26:                               ;   in Loop: Header=BB0_3 Depth=1
	s_or_b32 exec_lo, exec_lo, s46
	s_or_b32 s55, s55, exec_lo
	s_and_saveexec_b32 s46, s0
	s_cbranch_execz .LBB0_2
; %bb.27:                               ;   in Loop: Header=BB0_3 Depth=1
	v_mul_lo_u32 v16, s5, v3
	v_mul_lo_u32 v15, s4, v15
	v_mad_u64_u32 v[12:13], null, s4, v3, 0
	v_mul_lo_u32 v3, s7, v8
	v_mul_lo_u32 v17, s6, v9
	v_mad_u64_u32 v[8:9], null, s6, v8, 0
	v_mul_lo_u32 v18, s43, v10
	v_mul_lo_u32 v19, s42, v11
	v_add3_u32 v13, v13, v15, v16
	v_mad_u64_u32 v[15:16], null, s42, v10, 0
	v_add_co_u32 v4, s0, v4, 0
	v_add3_u32 v9, v9, v17, v3
	v_lshlrev_b64 v[11:12], 3, v[12:13]
	v_add_co_ci_u32_e64 v5, null, s53, v5, s0
	v_add3_u32 v16, v16, v19, v18
	v_lshlrev_b64 v[8:9], 3, v[8:9]
	s_andn2_b32 s55, s55, exec_lo
	v_add_co_u32 v3, vcc_lo, s30, v11
	v_add_co_ci_u32_e64 v10, null, s31, v12, vcc_lo
	v_add_co_u32 v3, vcc_lo, v3, v8
	v_add_co_ci_u32_e64 v10, null, v10, v9, vcc_lo
	v_lshlrev_b64 v[8:9], 3, v[15:16]
	v_add_co_u32 v0, vcc_lo, v0, s50
	v_add_co_ci_u32_e64 v1, null, 0, v1, vcc_lo
	v_add_co_u32 v8, vcc_lo, v3, v8
	v_add_co_ci_u32_e64 v9, null, v10, v9, vcc_lo
	v_cmp_le_i64_e32 vcc_lo, s[2:3], v[0:1]
	global_store_dwordx2 v[8:9], v[6:7], off
	s_orn2_b32 s45, vcc_lo, exec_lo
	s_branch .LBB0_2
.LBB0_28:
	s_or_b32 exec_lo, exec_lo, s52
	s_and_saveexec_b32 s0, s54
	s_xor_b32 s0, exec_lo, s0
	s_cbranch_execnz .LBB0_30
.LBB0_29:
	s_endpgm
.LBB0_30:
	s_trap 2
	; divergent unreachable
	s_endpgm
	.section	.rodata,"a",@progbits
	.p2align	6, 0x0
	.amdhsa_kernel _ZN2at6native12_GLOBAL__N_135nll_loss2d_forward_no_reduce_kernelIdEEvlN5torch10headeronly6detail27GenericPackedTensorAccessorINS5_14TensorAccessorIN3c108ArrayRefIlEET_Lm3ENS4_16DefaultPtrTraitsElEENS_6detail16IndexBoundsCheckILm4ElEESB_Lm4ESC_lEENS6_INS7_ISA_lLm2ESC_lEENSF_ILm3ElEElLm3ESC_lEENS6_INS7_ISA_SB_Lm2ESC_lEESJ_SB_Lm3ESC_lEEPKSB_l
		.amdhsa_group_segment_fixed_size 0
		.amdhsa_private_segment_fixed_size 0
		.amdhsa_kernarg_size 464
		.amdhsa_user_sgpr_count 6
		.amdhsa_user_sgpr_private_segment_buffer 1
		.amdhsa_user_sgpr_dispatch_ptr 0
		.amdhsa_user_sgpr_queue_ptr 0
		.amdhsa_user_sgpr_kernarg_segment_ptr 1
		.amdhsa_user_sgpr_dispatch_id 0
		.amdhsa_user_sgpr_flat_scratch_init 0
		.amdhsa_user_sgpr_private_segment_size 0
		.amdhsa_wavefront_size32 1
		.amdhsa_uses_dynamic_stack 0
		.amdhsa_system_sgpr_private_segment_wavefront_offset 0
		.amdhsa_system_sgpr_workgroup_id_x 1
		.amdhsa_system_sgpr_workgroup_id_y 0
		.amdhsa_system_sgpr_workgroup_id_z 0
		.amdhsa_system_sgpr_workgroup_info 0
		.amdhsa_system_vgpr_workitem_id 0
		.amdhsa_next_free_vgpr 26
		.amdhsa_next_free_sgpr 65
		.amdhsa_reserve_vcc 1
		.amdhsa_reserve_flat_scratch 0
		.amdhsa_float_round_mode_32 0
		.amdhsa_float_round_mode_16_64 0
		.amdhsa_float_denorm_mode_32 3
		.amdhsa_float_denorm_mode_16_64 3
		.amdhsa_dx10_clamp 1
		.amdhsa_ieee_mode 1
		.amdhsa_fp16_overflow 0
		.amdhsa_workgroup_processor_mode 1
		.amdhsa_memory_ordered 1
		.amdhsa_forward_progress 1
		.amdhsa_shared_vgpr_count 0
		.amdhsa_exception_fp_ieee_invalid_op 0
		.amdhsa_exception_fp_denorm_src 0
		.amdhsa_exception_fp_ieee_div_zero 0
		.amdhsa_exception_fp_ieee_overflow 0
		.amdhsa_exception_fp_ieee_underflow 0
		.amdhsa_exception_fp_ieee_inexact 0
		.amdhsa_exception_int_div_zero 0
	.end_amdhsa_kernel
	.section	.text._ZN2at6native12_GLOBAL__N_135nll_loss2d_forward_no_reduce_kernelIdEEvlN5torch10headeronly6detail27GenericPackedTensorAccessorINS5_14TensorAccessorIN3c108ArrayRefIlEET_Lm3ENS4_16DefaultPtrTraitsElEENS_6detail16IndexBoundsCheckILm4ElEESB_Lm4ESC_lEENS6_INS7_ISA_lLm2ESC_lEENSF_ILm3ElEElLm3ESC_lEENS6_INS7_ISA_SB_Lm2ESC_lEESJ_SB_Lm3ESC_lEEPKSB_l,"axG",@progbits,_ZN2at6native12_GLOBAL__N_135nll_loss2d_forward_no_reduce_kernelIdEEvlN5torch10headeronly6detail27GenericPackedTensorAccessorINS5_14TensorAccessorIN3c108ArrayRefIlEET_Lm3ENS4_16DefaultPtrTraitsElEENS_6detail16IndexBoundsCheckILm4ElEESB_Lm4ESC_lEENS6_INS7_ISA_lLm2ESC_lEENSF_ILm3ElEElLm3ESC_lEENS6_INS7_ISA_SB_Lm2ESC_lEESJ_SB_Lm3ESC_lEEPKSB_l,comdat
.Lfunc_end0:
	.size	_ZN2at6native12_GLOBAL__N_135nll_loss2d_forward_no_reduce_kernelIdEEvlN5torch10headeronly6detail27GenericPackedTensorAccessorINS5_14TensorAccessorIN3c108ArrayRefIlEET_Lm3ENS4_16DefaultPtrTraitsElEENS_6detail16IndexBoundsCheckILm4ElEESB_Lm4ESC_lEENS6_INS7_ISA_lLm2ESC_lEENSF_ILm3ElEElLm3ESC_lEENS6_INS7_ISA_SB_Lm2ESC_lEESJ_SB_Lm3ESC_lEEPKSB_l, .Lfunc_end0-_ZN2at6native12_GLOBAL__N_135nll_loss2d_forward_no_reduce_kernelIdEEvlN5torch10headeronly6detail27GenericPackedTensorAccessorINS5_14TensorAccessorIN3c108ArrayRefIlEET_Lm3ENS4_16DefaultPtrTraitsElEENS_6detail16IndexBoundsCheckILm4ElEESB_Lm4ESC_lEENS6_INS7_ISA_lLm2ESC_lEENSF_ILm3ElEElLm3ESC_lEENS6_INS7_ISA_SB_Lm2ESC_lEESJ_SB_Lm3ESC_lEEPKSB_l
                                        ; -- End function
	.set _ZN2at6native12_GLOBAL__N_135nll_loss2d_forward_no_reduce_kernelIdEEvlN5torch10headeronly6detail27GenericPackedTensorAccessorINS5_14TensorAccessorIN3c108ArrayRefIlEET_Lm3ENS4_16DefaultPtrTraitsElEENS_6detail16IndexBoundsCheckILm4ElEESB_Lm4ESC_lEENS6_INS7_ISA_lLm2ESC_lEENSF_ILm3ElEElLm3ESC_lEENS6_INS7_ISA_SB_Lm2ESC_lEESJ_SB_Lm3ESC_lEEPKSB_l.num_vgpr, 26
	.set _ZN2at6native12_GLOBAL__N_135nll_loss2d_forward_no_reduce_kernelIdEEvlN5torch10headeronly6detail27GenericPackedTensorAccessorINS5_14TensorAccessorIN3c108ArrayRefIlEET_Lm3ENS4_16DefaultPtrTraitsElEENS_6detail16IndexBoundsCheckILm4ElEESB_Lm4ESC_lEENS6_INS7_ISA_lLm2ESC_lEENSF_ILm3ElEElLm3ESC_lEENS6_INS7_ISA_SB_Lm2ESC_lEESJ_SB_Lm3ESC_lEEPKSB_l.num_agpr, 0
	.set _ZN2at6native12_GLOBAL__N_135nll_loss2d_forward_no_reduce_kernelIdEEvlN5torch10headeronly6detail27GenericPackedTensorAccessorINS5_14TensorAccessorIN3c108ArrayRefIlEET_Lm3ENS4_16DefaultPtrTraitsElEENS_6detail16IndexBoundsCheckILm4ElEESB_Lm4ESC_lEENS6_INS7_ISA_lLm2ESC_lEENSF_ILm3ElEElLm3ESC_lEENS6_INS7_ISA_SB_Lm2ESC_lEESJ_SB_Lm3ESC_lEEPKSB_l.numbered_sgpr, 65
	.set _ZN2at6native12_GLOBAL__N_135nll_loss2d_forward_no_reduce_kernelIdEEvlN5torch10headeronly6detail27GenericPackedTensorAccessorINS5_14TensorAccessorIN3c108ArrayRefIlEET_Lm3ENS4_16DefaultPtrTraitsElEENS_6detail16IndexBoundsCheckILm4ElEESB_Lm4ESC_lEENS6_INS7_ISA_lLm2ESC_lEENSF_ILm3ElEElLm3ESC_lEENS6_INS7_ISA_SB_Lm2ESC_lEESJ_SB_Lm3ESC_lEEPKSB_l.num_named_barrier, 0
	.set _ZN2at6native12_GLOBAL__N_135nll_loss2d_forward_no_reduce_kernelIdEEvlN5torch10headeronly6detail27GenericPackedTensorAccessorINS5_14TensorAccessorIN3c108ArrayRefIlEET_Lm3ENS4_16DefaultPtrTraitsElEENS_6detail16IndexBoundsCheckILm4ElEESB_Lm4ESC_lEENS6_INS7_ISA_lLm2ESC_lEENSF_ILm3ElEElLm3ESC_lEENS6_INS7_ISA_SB_Lm2ESC_lEESJ_SB_Lm3ESC_lEEPKSB_l.private_seg_size, 0
	.set _ZN2at6native12_GLOBAL__N_135nll_loss2d_forward_no_reduce_kernelIdEEvlN5torch10headeronly6detail27GenericPackedTensorAccessorINS5_14TensorAccessorIN3c108ArrayRefIlEET_Lm3ENS4_16DefaultPtrTraitsElEENS_6detail16IndexBoundsCheckILm4ElEESB_Lm4ESC_lEENS6_INS7_ISA_lLm2ESC_lEENSF_ILm3ElEElLm3ESC_lEENS6_INS7_ISA_SB_Lm2ESC_lEESJ_SB_Lm3ESC_lEEPKSB_l.uses_vcc, 1
	.set _ZN2at6native12_GLOBAL__N_135nll_loss2d_forward_no_reduce_kernelIdEEvlN5torch10headeronly6detail27GenericPackedTensorAccessorINS5_14TensorAccessorIN3c108ArrayRefIlEET_Lm3ENS4_16DefaultPtrTraitsElEENS_6detail16IndexBoundsCheckILm4ElEESB_Lm4ESC_lEENS6_INS7_ISA_lLm2ESC_lEENSF_ILm3ElEElLm3ESC_lEENS6_INS7_ISA_SB_Lm2ESC_lEESJ_SB_Lm3ESC_lEEPKSB_l.uses_flat_scratch, 0
	.set _ZN2at6native12_GLOBAL__N_135nll_loss2d_forward_no_reduce_kernelIdEEvlN5torch10headeronly6detail27GenericPackedTensorAccessorINS5_14TensorAccessorIN3c108ArrayRefIlEET_Lm3ENS4_16DefaultPtrTraitsElEENS_6detail16IndexBoundsCheckILm4ElEESB_Lm4ESC_lEENS6_INS7_ISA_lLm2ESC_lEENSF_ILm3ElEElLm3ESC_lEENS6_INS7_ISA_SB_Lm2ESC_lEESJ_SB_Lm3ESC_lEEPKSB_l.has_dyn_sized_stack, 0
	.set _ZN2at6native12_GLOBAL__N_135nll_loss2d_forward_no_reduce_kernelIdEEvlN5torch10headeronly6detail27GenericPackedTensorAccessorINS5_14TensorAccessorIN3c108ArrayRefIlEET_Lm3ENS4_16DefaultPtrTraitsElEENS_6detail16IndexBoundsCheckILm4ElEESB_Lm4ESC_lEENS6_INS7_ISA_lLm2ESC_lEENSF_ILm3ElEElLm3ESC_lEENS6_INS7_ISA_SB_Lm2ESC_lEESJ_SB_Lm3ESC_lEEPKSB_l.has_recursion, 0
	.set _ZN2at6native12_GLOBAL__N_135nll_loss2d_forward_no_reduce_kernelIdEEvlN5torch10headeronly6detail27GenericPackedTensorAccessorINS5_14TensorAccessorIN3c108ArrayRefIlEET_Lm3ENS4_16DefaultPtrTraitsElEENS_6detail16IndexBoundsCheckILm4ElEESB_Lm4ESC_lEENS6_INS7_ISA_lLm2ESC_lEENSF_ILm3ElEElLm3ESC_lEENS6_INS7_ISA_SB_Lm2ESC_lEESJ_SB_Lm3ESC_lEEPKSB_l.has_indirect_call, 0
	.section	.AMDGPU.csdata,"",@progbits
; Kernel info:
; codeLenInByte = 4148
; TotalNumSgprs: 67
; NumVgprs: 26
; ScratchSize: 0
; MemoryBound: 0
; FloatMode: 240
; IeeeMode: 1
; LDSByteSize: 0 bytes/workgroup (compile time only)
; SGPRBlocks: 0
; VGPRBlocks: 3
; NumSGPRsForWavesPerEU: 67
; NumVGPRsForWavesPerEU: 26
; Occupancy: 16
; WaveLimiterHint : 1
; COMPUTE_PGM_RSRC2:SCRATCH_EN: 0
; COMPUTE_PGM_RSRC2:USER_SGPR: 6
; COMPUTE_PGM_RSRC2:TRAP_HANDLER: 0
; COMPUTE_PGM_RSRC2:TGID_X_EN: 1
; COMPUTE_PGM_RSRC2:TGID_Y_EN: 0
; COMPUTE_PGM_RSRC2:TGID_Z_EN: 0
; COMPUTE_PGM_RSRC2:TIDIG_COMP_CNT: 0
	.section	.text._ZN2at6native12_GLOBAL__N_135nll_loss2d_forward_no_reduce_kernelIfEEvlN5torch10headeronly6detail27GenericPackedTensorAccessorINS5_14TensorAccessorIN3c108ArrayRefIlEET_Lm3ENS4_16DefaultPtrTraitsElEENS_6detail16IndexBoundsCheckILm4ElEESB_Lm4ESC_lEENS6_INS7_ISA_lLm2ESC_lEENSF_ILm3ElEElLm3ESC_lEENS6_INS7_ISA_SB_Lm2ESC_lEESJ_SB_Lm3ESC_lEEPKSB_l,"axG",@progbits,_ZN2at6native12_GLOBAL__N_135nll_loss2d_forward_no_reduce_kernelIfEEvlN5torch10headeronly6detail27GenericPackedTensorAccessorINS5_14TensorAccessorIN3c108ArrayRefIlEET_Lm3ENS4_16DefaultPtrTraitsElEENS_6detail16IndexBoundsCheckILm4ElEESB_Lm4ESC_lEENS6_INS7_ISA_lLm2ESC_lEENSF_ILm3ElEElLm3ESC_lEENS6_INS7_ISA_SB_Lm2ESC_lEESJ_SB_Lm3ESC_lEEPKSB_l,comdat
	.globl	_ZN2at6native12_GLOBAL__N_135nll_loss2d_forward_no_reduce_kernelIfEEvlN5torch10headeronly6detail27GenericPackedTensorAccessorINS5_14TensorAccessorIN3c108ArrayRefIlEET_Lm3ENS4_16DefaultPtrTraitsElEENS_6detail16IndexBoundsCheckILm4ElEESB_Lm4ESC_lEENS6_INS7_ISA_lLm2ESC_lEENSF_ILm3ElEElLm3ESC_lEENS6_INS7_ISA_SB_Lm2ESC_lEESJ_SB_Lm3ESC_lEEPKSB_l ; -- Begin function _ZN2at6native12_GLOBAL__N_135nll_loss2d_forward_no_reduce_kernelIfEEvlN5torch10headeronly6detail27GenericPackedTensorAccessorINS5_14TensorAccessorIN3c108ArrayRefIlEET_Lm3ENS4_16DefaultPtrTraitsElEENS_6detail16IndexBoundsCheckILm4ElEESB_Lm4ESC_lEENS6_INS7_ISA_lLm2ESC_lEENSF_ILm3ElEElLm3ESC_lEENS6_INS7_ISA_SB_Lm2ESC_lEESJ_SB_Lm3ESC_lEEPKSB_l
	.p2align	8
	.type	_ZN2at6native12_GLOBAL__N_135nll_loss2d_forward_no_reduce_kernelIfEEvlN5torch10headeronly6detail27GenericPackedTensorAccessorINS5_14TensorAccessorIN3c108ArrayRefIlEET_Lm3ENS4_16DefaultPtrTraitsElEENS_6detail16IndexBoundsCheckILm4ElEESB_Lm4ESC_lEENS6_INS7_ISA_lLm2ESC_lEENSF_ILm3ElEElLm3ESC_lEENS6_INS7_ISA_SB_Lm2ESC_lEESJ_SB_Lm3ESC_lEEPKSB_l,@function
_ZN2at6native12_GLOBAL__N_135nll_loss2d_forward_no_reduce_kernelIfEEvlN5torch10headeronly6detail27GenericPackedTensorAccessorINS5_14TensorAccessorIN3c108ArrayRefIlEET_Lm3ENS4_16DefaultPtrTraitsElEENS_6detail16IndexBoundsCheckILm4ElEESB_Lm4ESC_lEENS6_INS7_ISA_lLm2ESC_lEENSF_ILm3ElEElLm3ESC_lEENS6_INS7_ISA_SB_Lm2ESC_lEESJ_SB_Lm3ESC_lEEPKSB_l: ; @_ZN2at6native12_GLOBAL__N_135nll_loss2d_forward_no_reduce_kernelIfEEvlN5torch10headeronly6detail27GenericPackedTensorAccessorINS5_14TensorAccessorIN3c108ArrayRefIlEET_Lm3ENS4_16DefaultPtrTraitsElEENS_6detail16IndexBoundsCheckILm4ElEESB_Lm4ESC_lEENS6_INS7_ISA_lLm2ESC_lEENSF_ILm3ElEElLm3ESC_lEENS6_INS7_ISA_SB_Lm2ESC_lEESJ_SB_Lm3ESC_lEEPKSB_l
; %bb.0:
	s_clause 0x1
	s_load_dword s7, s[4:5], 0xdc
	s_load_dwordx2 s[2:3], s[4:5], 0x0
	v_mov_b32_e32 v2, 0
	s_add_u32 s0, s4, 0xd0
	s_addc_u32 s1, s5, 0
	v_mov_b32_e32 v1, v2
	s_waitcnt lgkmcnt(0)
	s_and_b32 s44, s7, 0xffff
	v_mad_u64_u32 v[0:1], null, s44, s6, v[0:1]
	s_mov_b32 s6, exec_lo
	v_cmpx_gt_i64_e64 s[2:3], v[0:1]
	s_cbranch_execz .LBB1_29
; %bb.1:
	s_clause 0x1
	s_load_dwordx8 s[8:15], s[4:5], 0x10
	s_load_dwordx4 s[36:39], s[4:5], 0xc0
	s_load_dword s0, s[0:1], 0x0
	s_clause 0x5
	s_load_dwordx2 s[34:35], s[4:5], 0x8
	s_load_dwordx8 s[16:23], s[4:5], 0x30
	s_load_dwordx2 s[40:41], s[4:5], 0x50
	s_load_dwordx8 s[24:31], s[4:5], 0x70
	s_load_dwordx2 s[42:43], s[4:5], 0xb8
	s_load_dwordx4 s[4:7], s[4:5], 0xa8
	s_mov_b32 s52, 0
                                        ; implicit-def: $sgpr54
                                        ; implicit-def: $sgpr55
	s_waitcnt lgkmcnt(0)
	v_cvt_f32_u32_e32 v3, s8
	s_mul_i32 s33, s12, s9
	s_mul_hi_u32 s45, s12, s8
	s_mul_i32 s46, s13, s8
	s_add_i32 s33, s45, s33
	v_rcp_iflag_f32_e32 v4, v3
	v_mov_b32_e32 v3, v0
	s_add_i32 s33, s33, s46
	s_cmp_lg_u64 s[36:37], 0
	s_mul_i32 s50, s0, s44
	s_mul_i32 s1, s12, s8
	s_cselect_b32 s51, -1, 0
	s_mov_b32 s53, s50
	s_ashr_i32 s44, s9, 31
	v_mul_f32_e32 v4, 0x4f7ffffe, v4
	v_cvt_u32_f32_e32 v14, v4
	v_mov_b32_e32 v5, v3
	v_mov_b32_e32 v4, v2
	s_branch .LBB1_3
.LBB1_2:                                ;   in Loop: Header=BB1_3 Depth=1
	s_or_b32 exec_lo, exec_lo, s46
	s_and_b32 s0, exec_lo, s45
	s_or_b32 s52, s0, s52
	s_andn2_b32 s0, s54, exec_lo
	s_and_b32 s45, s55, exec_lo
	s_or_b32 s54, s0, s45
	s_andn2_b32 exec_lo, exec_lo, s52
	s_cbranch_execz .LBB1_28
.LBB1_3:                                ; =>This Inner Loop Header: Depth=1
	v_ashrrev_i32_e32 v15, 31, v5
	v_mov_b32_e32 v16, v5
                                        ; implicit-def: $vgpr6_vgpr7
	s_mov_b32 s0, exec_lo
	v_or_b32_e32 v3, s9, v15
	v_ashrrev_i32_e32 v10, 31, v15
	v_cmpx_ne_u64_e32 0, v[2:3]
	s_xor_b32 s48, exec_lo, s0
	s_cbranch_execz .LBB1_5
; %bb.4:                                ;   in Loop: Header=BB1_3 Depth=1
	s_add_u32 s46, s8, s44
	s_mov_b32 s45, s44
	s_addc_u32 s47, s9, s44
	v_add_co_u32 v7, vcc_lo, v16, v10
	s_xor_b64 s[46:47], s[46:47], s[44:45]
	v_add_co_ci_u32_e64 v8, null, v15, v10, vcc_lo
	v_cvt_f32_u32_e32 v3, s46
	v_cvt_f32_u32_e32 v6, s47
	s_sub_u32 s49, 0, s46
	s_subb_u32 s56, 0, s47
	v_xor_b32_e32 v13, v8, v10
	v_fmac_f32_e32 v3, 0x4f800000, v6
	v_rcp_f32_e32 v3, v3
	v_mul_f32_e32 v3, 0x5f7ffffc, v3
	v_mul_f32_e32 v6, 0x2f800000, v3
	v_trunc_f32_e32 v6, v6
	v_fmac_f32_e32 v3, 0xcf800000, v6
	v_cvt_u32_f32_e32 v6, v6
	v_cvt_u32_f32_e32 v3, v3
	v_readfirstlane_b32 s0, v6
	v_readfirstlane_b32 s45, v3
	s_mul_i32 s57, s49, s0
	v_xor_b32_e32 v3, v7, v10
	s_mul_hi_u32 s59, s49, s45
	s_mul_i32 s58, s56, s45
	s_add_i32 s57, s59, s57
	s_mul_i32 s60, s49, s45
	s_add_i32 s57, s57, s58
	s_mul_hi_u32 s59, s45, s60
	s_mul_i32 s62, s45, s57
	s_mul_hi_u32 s61, s0, s60
	s_mul_i32 s58, s0, s60
	s_mul_hi_u32 s60, s45, s57
	s_add_u32 s59, s59, s62
	s_addc_u32 s60, 0, s60
	s_mul_hi_u32 s63, s0, s57
	s_add_u32 s58, s59, s58
	s_mul_i32 s57, s0, s57
	s_addc_u32 s58, s60, s61
	s_addc_u32 s59, s63, 0
	s_add_u32 s57, s58, s57
	s_addc_u32 s58, 0, s59
	s_add_u32 s45, s45, s57
	s_cselect_b32 s57, -1, 0
	s_mul_hi_u32 s59, s49, s45
	s_cmp_lg_u32 s57, 0
	s_mul_i32 s57, s49, s45
	s_addc_u32 s0, s0, s58
	s_mul_i32 s56, s56, s45
	s_mul_i32 s49, s49, s0
	s_mul_hi_u32 s58, s45, s57
	s_add_i32 s49, s59, s49
	s_mul_hi_u32 s59, s0, s57
	s_add_i32 s49, s49, s56
	s_mul_i32 s56, s0, s57
	s_mul_i32 s61, s45, s49
	s_mul_hi_u32 s60, s45, s49
	s_add_u32 s58, s58, s61
	s_addc_u32 s60, 0, s60
	s_mul_hi_u32 s57, s0, s49
	s_add_u32 s56, s58, s56
	s_mul_i32 s49, s0, s49
	s_addc_u32 s56, s60, s59
	s_addc_u32 s57, s57, 0
	s_add_u32 s49, s56, s49
	s_addc_u32 s56, 0, s57
	s_add_u32 s45, s45, s49
	s_cselect_b32 s49, -1, 0
	v_mul_hi_u32 v17, v3, s45
	s_cmp_lg_u32 s49, 0
	v_mad_u64_u32 v[8:9], null, v13, s45, 0
	s_addc_u32 s0, s0, s56
	v_mad_u64_u32 v[6:7], null, v3, s0, 0
	v_mad_u64_u32 v[11:12], null, v13, s0, 0
	v_add_co_u32 v6, vcc_lo, v17, v6
	v_add_co_ci_u32_e64 v7, null, 0, v7, vcc_lo
	v_add_co_u32 v6, vcc_lo, v6, v8
	v_add_co_ci_u32_e32 v6, vcc_lo, v7, v9, vcc_lo
	v_add_co_ci_u32_e32 v7, vcc_lo, 0, v12, vcc_lo
	v_add_co_u32 v8, vcc_lo, v6, v11
	v_add_co_ci_u32_e64 v9, null, 0, v7, vcc_lo
	v_mul_lo_u32 v11, s47, v8
	v_mad_u64_u32 v[6:7], null, s46, v8, 0
	v_mul_lo_u32 v12, s46, v9
	v_sub_co_u32 v3, vcc_lo, v3, v6
	v_add3_u32 v7, v7, v12, v11
	v_sub_nc_u32_e32 v11, v13, v7
	v_sub_co_ci_u32_e64 v7, null, v13, v7, vcc_lo
	v_subrev_co_ci_u32_e64 v6, null, s47, v11, vcc_lo
	v_add_co_u32 v11, s0, v8, 2
	v_add_co_ci_u32_e64 v12, null, 0, v9, s0
	v_sub_co_u32 v17, s0, v3, s46
	v_subrev_co_ci_u32_e64 v6, null, 0, v6, s0
	v_cmp_le_u32_e32 vcc_lo, s46, v17
	v_cndmask_b32_e64 v13, 0, -1, vcc_lo
	v_cmp_le_u32_e32 vcc_lo, s47, v6
	v_cndmask_b32_e64 v17, 0, -1, vcc_lo
	;; [unrolled: 2-line block ×4, first 2 shown]
	v_cmp_eq_u32_e32 vcc_lo, s47, v6
	v_cndmask_b32_e32 v6, v17, v13, vcc_lo
	v_add_co_u32 v13, vcc_lo, v8, 1
	v_add_co_ci_u32_e64 v17, null, 0, v9, vcc_lo
	v_cmp_eq_u32_e32 vcc_lo, s47, v7
	v_xor_b32_e32 v7, s44, v10
	v_cndmask_b32_e32 v3, v18, v3, vcc_lo
	v_cmp_ne_u32_e32 vcc_lo, 0, v6
	v_cmp_ne_u32_e64 s0, 0, v3
	v_cndmask_b32_e32 v3, v13, v11, vcc_lo
	v_cndmask_b32_e32 v6, v17, v12, vcc_lo
	v_cndmask_b32_e64 v3, v8, v3, s0
	v_cndmask_b32_e64 v6, v9, v6, s0
	v_xor_b32_e32 v3, v3, v7
	v_xor_b32_e32 v8, v6, v7
	v_sub_co_u32 v6, vcc_lo, v3, v7
	v_sub_co_ci_u32_e64 v7, null, v8, v7, vcc_lo
.LBB1_5:                                ;   in Loop: Header=BB1_3 Depth=1
	s_andn2_saveexec_b32 s0, s48
	s_cbranch_execz .LBB1_7
; %bb.6:                                ;   in Loop: Header=BB1_3 Depth=1
	s_sub_i32 s45, 0, s8
	v_mul_lo_u32 v3, s45, v14
	v_mul_hi_u32 v3, v14, v3
	v_add_nc_u32_e32 v3, v14, v3
	v_mul_hi_u32 v3, v16, v3
	v_mul_lo_u32 v6, v3, s8
	v_add_nc_u32_e32 v7, 1, v3
	v_sub_nc_u32_e32 v6, v16, v6
	v_subrev_nc_u32_e32 v8, s8, v6
	v_cmp_le_u32_e32 vcc_lo, s8, v6
	v_cndmask_b32_e32 v6, v6, v8, vcc_lo
	v_cndmask_b32_e32 v3, v3, v7, vcc_lo
	v_cmp_le_u32_e32 vcc_lo, s8, v6
	v_add_nc_u32_e32 v7, 1, v3
	v_cndmask_b32_e32 v6, v3, v7, vcc_lo
	v_mov_b32_e32 v7, v2
.LBB1_7:                                ;   in Loop: Header=BB1_3 Depth=1
	s_or_b32 exec_lo, exec_lo, s0
	v_or_b32_e32 v3, s13, v7
                                        ; implicit-def: $vgpr8_vgpr9
	s_mov_b32 s0, exec_lo
	v_cmpx_ne_u64_e32 0, v[2:3]
	s_xor_b32 s45, exec_lo, s0
	s_cbranch_execz .LBB1_9
; %bb.8:                                ;   in Loop: Header=BB1_3 Depth=1
	s_ashr_i32 s46, s13, 31
	v_ashrrev_i32_e32 v13, 31, v7
	s_add_u32 s48, s12, s46
	s_mov_b32 s47, s46
	s_addc_u32 s49, s13, s46
	s_xor_b64 s[46:47], s[48:49], s[46:47]
	v_add_co_u32 v9, vcc_lo, v6, v13
	v_cvt_f32_u32_e32 v3, s46
	v_cvt_f32_u32_e32 v8, s47
	s_sub_u32 s49, 0, s46
	s_subb_u32 s56, 0, s47
	v_add_co_ci_u32_e64 v11, null, v7, v13, vcc_lo
	v_fmac_f32_e32 v3, 0x4f800000, v8
	v_xor_b32_e32 v19, v11, v13
	v_rcp_f32_e32 v3, v3
	v_mul_f32_e32 v3, 0x5f7ffffc, v3
	v_mul_f32_e32 v8, 0x2f800000, v3
	v_trunc_f32_e32 v8, v8
	v_fmac_f32_e32 v3, 0xcf800000, v8
	v_cvt_u32_f32_e32 v8, v8
	v_cvt_u32_f32_e32 v3, v3
	v_readfirstlane_b32 s0, v8
	v_readfirstlane_b32 s48, v3
	s_mul_i32 s57, s49, s0
	v_xor_b32_e32 v3, v9, v13
	s_mul_hi_u32 s59, s49, s48
	s_mul_i32 s58, s56, s48
	s_add_i32 s57, s59, s57
	s_mul_i32 s60, s49, s48
	s_add_i32 s57, s57, s58
	s_mul_hi_u32 s59, s48, s60
	s_mul_i32 s62, s48, s57
	s_mul_hi_u32 s61, s0, s60
	s_mul_i32 s58, s0, s60
	s_mul_hi_u32 s60, s48, s57
	s_add_u32 s59, s59, s62
	s_addc_u32 s60, 0, s60
	s_mul_hi_u32 s63, s0, s57
	s_add_u32 s58, s59, s58
	s_mul_i32 s57, s0, s57
	s_addc_u32 s58, s60, s61
	s_addc_u32 s59, s63, 0
	s_add_u32 s57, s58, s57
	s_addc_u32 s58, 0, s59
	s_add_u32 s48, s48, s57
	s_cselect_b32 s57, -1, 0
	s_mul_hi_u32 s59, s49, s48
	s_cmp_lg_u32 s57, 0
	s_mul_i32 s57, s49, s48
	s_addc_u32 s0, s0, s58
	s_mul_i32 s56, s56, s48
	s_mul_i32 s49, s49, s0
	s_mul_hi_u32 s58, s48, s57
	s_add_i32 s49, s59, s49
	s_mul_hi_u32 s59, s0, s57
	s_add_i32 s49, s49, s56
	s_mul_i32 s56, s0, s57
	s_mul_i32 s61, s48, s49
	s_mul_hi_u32 s60, s48, s49
	s_add_u32 s58, s58, s61
	s_addc_u32 s60, 0, s60
	s_mul_hi_u32 s57, s0, s49
	s_add_u32 s56, s58, s56
	s_mul_i32 s49, s0, s49
	s_addc_u32 s56, s60, s59
	s_addc_u32 s57, s57, 0
	s_add_u32 s49, s56, s49
	s_addc_u32 s56, 0, s57
	s_add_u32 s48, s48, s49
	s_cselect_b32 s49, -1, 0
	v_mul_hi_u32 v20, v3, s48
	s_cmp_lg_u32 s49, 0
	v_mad_u64_u32 v[11:12], null, v19, s48, 0
	s_addc_u32 s0, s0, s56
	v_mad_u64_u32 v[8:9], null, v3, s0, 0
	v_mad_u64_u32 v[17:18], null, v19, s0, 0
	v_add_co_u32 v8, vcc_lo, v20, v8
	v_add_co_ci_u32_e64 v9, null, 0, v9, vcc_lo
	v_add_co_u32 v8, vcc_lo, v8, v11
	v_add_co_ci_u32_e32 v8, vcc_lo, v9, v12, vcc_lo
	v_add_co_ci_u32_e32 v9, vcc_lo, 0, v18, vcc_lo
	v_add_co_u32 v8, vcc_lo, v8, v17
	v_add_co_ci_u32_e64 v11, null, 0, v9, vcc_lo
	v_mul_lo_u32 v12, s47, v8
	v_mad_u64_u32 v[8:9], null, s46, v8, 0
	v_mul_lo_u32 v11, s46, v11
	v_sub_co_u32 v3, vcc_lo, v3, v8
	v_add3_u32 v9, v9, v11, v12
	v_cmp_le_u32_e64 s0, s46, v3
	v_sub_nc_u32_e32 v11, v19, v9
	v_sub_co_ci_u32_e64 v9, null, v19, v9, vcc_lo
	v_cndmask_b32_e64 v17, 0, -1, s0
	v_subrev_co_ci_u32_e64 v8, null, s47, v11, vcc_lo
	v_sub_co_u32 v11, vcc_lo, v3, s46
	v_subrev_co_ci_u32_e64 v12, null, 0, v8, vcc_lo
	v_cmp_le_u32_e64 s0, s46, v11
	v_subrev_co_ci_u32_e64 v8, null, s47, v8, vcc_lo
	v_cmp_le_u32_e32 vcc_lo, s47, v9
	v_cndmask_b32_e64 v18, 0, -1, s0
	v_cmp_le_u32_e64 s0, s47, v12
	v_cndmask_b32_e64 v20, 0, -1, vcc_lo
	v_cmp_eq_u32_e32 vcc_lo, s47, v12
	v_cndmask_b32_e64 v19, 0, -1, s0
	v_cmp_eq_u32_e64 s0, s47, v9
	v_cndmask_b32_e32 v18, v19, v18, vcc_lo
	v_sub_co_u32 v19, vcc_lo, v11, s46
	v_subrev_co_ci_u32_e64 v8, null, 0, v8, vcc_lo
	v_cmp_ne_u32_e32 vcc_lo, 0, v18
	v_cndmask_b32_e64 v17, v20, v17, s0
	v_cndmask_b32_e32 v8, v12, v8, vcc_lo
	v_cndmask_b32_e32 v11, v11, v19, vcc_lo
	v_cmp_ne_u32_e32 vcc_lo, 0, v17
	v_cndmask_b32_e32 v3, v3, v11, vcc_lo
	v_cndmask_b32_e32 v8, v9, v8, vcc_lo
	v_xor_b32_e32 v3, v3, v13
	v_xor_b32_e32 v9, v8, v13
	v_sub_co_u32 v8, vcc_lo, v3, v13
	v_sub_co_ci_u32_e64 v9, null, v9, v13, vcc_lo
.LBB1_9:                                ;   in Loop: Header=BB1_3 Depth=1
	s_andn2_saveexec_b32 s0, s45
	s_cbranch_execz .LBB1_11
; %bb.10:                               ;   in Loop: Header=BB1_3 Depth=1
	v_cvt_f32_u32_e32 v3, s12
	s_sub_i32 s45, 0, s12
	v_mov_b32_e32 v9, v2
	v_rcp_iflag_f32_e32 v3, v3
	v_mul_f32_e32 v3, 0x4f7ffffe, v3
	v_cvt_u32_f32_e32 v3, v3
	v_mul_lo_u32 v8, s45, v3
	v_mul_hi_u32 v8, v3, v8
	v_add_nc_u32_e32 v3, v3, v8
	v_mul_hi_u32 v3, v6, v3
	v_mul_lo_u32 v3, v3, s12
	v_sub_nc_u32_e32 v3, v6, v3
	v_subrev_nc_u32_e32 v8, s12, v3
	v_cmp_le_u32_e32 vcc_lo, s12, v3
	v_cndmask_b32_e32 v3, v3, v8, vcc_lo
	v_subrev_nc_u32_e32 v8, s12, v3
	v_cmp_le_u32_e32 vcc_lo, s12, v3
	v_cndmask_b32_e32 v8, v3, v8, vcc_lo
.LBB1_11:                               ;   in Loop: Header=BB1_3 Depth=1
	s_or_b32 exec_lo, exec_lo, s0
	v_or_b32_e32 v3, s33, v15
                                        ; implicit-def: $vgpr12_vgpr13
	s_mov_b32 s0, exec_lo
	v_cmpx_ne_u64_e32 0, v[2:3]
	s_xor_b32 s45, exec_lo, s0
	s_cbranch_execz .LBB1_13
; %bb.12:                               ;   in Loop: Header=BB1_3 Depth=1
	s_ashr_i32 s46, s33, 31
	v_add_co_u32 v12, vcc_lo, v16, v10
	s_add_u32 s48, s1, s46
	s_mov_b32 s47, s46
	s_addc_u32 s49, s33, s46
	v_add_co_ci_u32_e64 v13, null, v15, v10, vcc_lo
	s_xor_b64 s[48:49], s[48:49], s[46:47]
	v_cvt_f32_u32_e32 v3, s48
	v_cvt_f32_u32_e32 v11, s49
	s_sub_u32 s56, 0, s48
	s_subb_u32 s57, 0, s49
	v_xor_b32_e32 v13, v13, v10
	v_fmac_f32_e32 v3, 0x4f800000, v11
	v_rcp_f32_e32 v3, v3
	v_mul_f32_e32 v3, 0x5f7ffffc, v3
	v_mul_f32_e32 v11, 0x2f800000, v3
	v_trunc_f32_e32 v11, v11
	v_fmac_f32_e32 v3, 0xcf800000, v11
	v_cvt_u32_f32_e32 v11, v11
	v_cvt_u32_f32_e32 v3, v3
	v_readfirstlane_b32 s0, v11
	v_readfirstlane_b32 s47, v3
	s_mul_i32 s58, s56, s0
	v_xor_b32_e32 v3, v12, v10
	v_xor_b32_e32 v10, s46, v10
	s_mul_hi_u32 s60, s56, s47
	s_mul_i32 s59, s57, s47
	s_add_i32 s58, s60, s58
	s_mul_i32 s61, s56, s47
	s_add_i32 s58, s58, s59
	s_mul_hi_u32 s60, s47, s61
	s_mul_i32 s63, s47, s58
	s_mul_hi_u32 s62, s0, s61
	s_mul_i32 s59, s0, s61
	s_mul_hi_u32 s61, s47, s58
	s_add_u32 s60, s60, s63
	s_addc_u32 s61, 0, s61
	s_mul_hi_u32 s64, s0, s58
	s_add_u32 s59, s60, s59
	s_mul_i32 s58, s0, s58
	s_addc_u32 s59, s61, s62
	s_addc_u32 s60, s64, 0
	s_add_u32 s58, s59, s58
	s_addc_u32 s59, 0, s60
	s_add_u32 s47, s47, s58
	s_cselect_b32 s58, -1, 0
	s_mul_hi_u32 s60, s56, s47
	s_cmp_lg_u32 s58, 0
	s_mul_i32 s58, s56, s47
	s_addc_u32 s0, s0, s59
	s_mul_i32 s57, s57, s47
	s_mul_i32 s56, s56, s0
	s_mul_hi_u32 s59, s47, s58
	s_add_i32 s56, s60, s56
	s_mul_hi_u32 s60, s0, s58
	s_add_i32 s56, s56, s57
	s_mul_i32 s57, s0, s58
	s_mul_i32 s62, s47, s56
	s_mul_hi_u32 s61, s47, s56
	s_add_u32 s59, s59, s62
	s_addc_u32 s61, 0, s61
	s_mul_hi_u32 s58, s0, s56
	s_add_u32 s57, s59, s57
	s_mul_i32 s56, s0, s56
	s_addc_u32 s57, s61, s60
	s_addc_u32 s58, s58, 0
	s_add_u32 s56, s57, s56
	s_addc_u32 s57, 0, s58
	s_add_u32 s47, s47, s56
	s_cselect_b32 s56, -1, 0
	v_mul_hi_u32 v21, v3, s47
	s_cmp_lg_u32 s56, 0
	v_mad_u64_u32 v[17:18], null, v13, s47, 0
	s_addc_u32 s0, s0, s57
	v_mad_u64_u32 v[11:12], null, v3, s0, 0
	v_mad_u64_u32 v[19:20], null, v13, s0, 0
	v_add_co_u32 v11, vcc_lo, v21, v11
	v_add_co_ci_u32_e64 v12, null, 0, v12, vcc_lo
	v_add_co_u32 v11, vcc_lo, v11, v17
	v_add_co_ci_u32_e32 v11, vcc_lo, v12, v18, vcc_lo
	v_add_co_ci_u32_e32 v12, vcc_lo, 0, v20, vcc_lo
	v_add_co_u32 v17, vcc_lo, v11, v19
	v_add_co_ci_u32_e64 v18, null, 0, v12, vcc_lo
	v_mul_lo_u32 v19, s49, v17
	v_mad_u64_u32 v[11:12], null, s48, v17, 0
	v_mul_lo_u32 v20, s48, v18
	v_sub_co_u32 v3, vcc_lo, v3, v11
	v_add3_u32 v12, v12, v20, v19
	v_sub_nc_u32_e32 v19, v13, v12
	v_sub_co_ci_u32_e64 v12, null, v13, v12, vcc_lo
	v_subrev_co_ci_u32_e64 v11, null, s49, v19, vcc_lo
	v_add_co_u32 v19, s0, v17, 2
	v_add_co_ci_u32_e64 v20, null, 0, v18, s0
	v_sub_co_u32 v21, s0, v3, s48
	v_subrev_co_ci_u32_e64 v11, null, 0, v11, s0
	v_cmp_le_u32_e32 vcc_lo, s48, v21
	v_cndmask_b32_e64 v13, 0, -1, vcc_lo
	v_cmp_le_u32_e32 vcc_lo, s49, v11
	v_cndmask_b32_e64 v21, 0, -1, vcc_lo
	;; [unrolled: 2-line block ×4, first 2 shown]
	v_cmp_eq_u32_e32 vcc_lo, s49, v11
	v_cndmask_b32_e32 v11, v21, v13, vcc_lo
	v_add_co_u32 v13, vcc_lo, v17, 1
	v_add_co_ci_u32_e64 v21, null, 0, v18, vcc_lo
	v_cmp_eq_u32_e32 vcc_lo, s49, v12
	v_cndmask_b32_e32 v3, v22, v3, vcc_lo
	v_cmp_ne_u32_e32 vcc_lo, 0, v11
	v_cmp_ne_u32_e64 s0, 0, v3
	v_cndmask_b32_e32 v3, v13, v19, vcc_lo
	v_cndmask_b32_e32 v11, v21, v20, vcc_lo
	v_cndmask_b32_e64 v3, v17, v3, s0
	v_cndmask_b32_e64 v11, v18, v11, s0
	v_xor_b32_e32 v3, v3, v10
	v_xor_b32_e32 v11, v11, v10
	v_sub_co_u32 v12, vcc_lo, v3, v10
	v_sub_co_ci_u32_e64 v13, null, v11, v10, vcc_lo
.LBB1_13:                               ;   in Loop: Header=BB1_3 Depth=1
	s_andn2_saveexec_b32 s0, s45
	s_cbranch_execz .LBB1_15
; %bb.14:                               ;   in Loop: Header=BB1_3 Depth=1
	v_cvt_f32_u32_e32 v3, s1
	s_sub_i32 s45, 0, s1
	v_mov_b32_e32 v13, v2
	v_rcp_iflag_f32_e32 v3, v3
	v_mul_f32_e32 v3, 0x4f7ffffe, v3
	v_cvt_u32_f32_e32 v3, v3
	v_mul_lo_u32 v10, s45, v3
	v_mul_hi_u32 v10, v3, v10
	v_add_nc_u32_e32 v3, v3, v10
	v_mul_hi_u32 v3, v5, v3
	v_mul_lo_u32 v10, v3, s1
	v_add_nc_u32_e32 v11, 1, v3
	v_sub_nc_u32_e32 v10, v5, v10
	v_subrev_nc_u32_e32 v12, s1, v10
	v_cmp_le_u32_e32 vcc_lo, s1, v10
	v_cndmask_b32_e32 v10, v10, v12, vcc_lo
	v_cndmask_b32_e32 v3, v3, v11, vcc_lo
	v_cmp_le_u32_e32 vcc_lo, s1, v10
	v_add_nc_u32_e32 v11, 1, v3
	v_cndmask_b32_e32 v12, v3, v11, vcc_lo
.LBB1_15:                               ;   in Loop: Header=BB1_3 Depth=1
	s_or_b32 exec_lo, exec_lo, s0
	v_or_b32_e32 v3, s15, v13
                                        ; implicit-def: $vgpr10_vgpr11
	s_mov_b32 s0, exec_lo
	v_cmpx_ne_u64_e32 0, v[2:3]
	s_xor_b32 s45, exec_lo, s0
	s_cbranch_execz .LBB1_17
; %bb.16:                               ;   in Loop: Header=BB1_3 Depth=1
	s_ashr_i32 s46, s15, 31
	v_ashrrev_i32_e32 v19, 31, v13
	s_add_u32 s48, s14, s46
	s_mov_b32 s47, s46
	s_addc_u32 s49, s15, s46
	s_xor_b64 s[46:47], s[48:49], s[46:47]
	v_add_co_u32 v11, vcc_lo, v12, v19
	v_cvt_f32_u32_e32 v3, s46
	v_cvt_f32_u32_e32 v10, s47
	s_sub_u32 s49, 0, s46
	s_subb_u32 s56, 0, s47
	v_add_co_ci_u32_e64 v12, null, v13, v19, vcc_lo
	v_fmac_f32_e32 v3, 0x4f800000, v10
	v_xor_b32_e32 v20, v12, v19
	v_rcp_f32_e32 v3, v3
	v_mul_f32_e32 v3, 0x5f7ffffc, v3
	v_mul_f32_e32 v10, 0x2f800000, v3
	v_trunc_f32_e32 v10, v10
	v_fmac_f32_e32 v3, 0xcf800000, v10
	v_cvt_u32_f32_e32 v10, v10
	v_cvt_u32_f32_e32 v3, v3
	v_readfirstlane_b32 s0, v10
	v_readfirstlane_b32 s48, v3
	s_mul_i32 s57, s49, s0
	v_xor_b32_e32 v3, v11, v19
	s_mul_hi_u32 s59, s49, s48
	s_mul_i32 s58, s56, s48
	s_add_i32 s57, s59, s57
	s_mul_i32 s60, s49, s48
	s_add_i32 s57, s57, s58
	s_mul_hi_u32 s59, s48, s60
	s_mul_i32 s62, s48, s57
	s_mul_hi_u32 s61, s0, s60
	s_mul_i32 s58, s0, s60
	s_mul_hi_u32 s60, s48, s57
	s_add_u32 s59, s59, s62
	s_addc_u32 s60, 0, s60
	s_mul_hi_u32 s63, s0, s57
	s_add_u32 s58, s59, s58
	s_mul_i32 s57, s0, s57
	s_addc_u32 s58, s60, s61
	s_addc_u32 s59, s63, 0
	s_add_u32 s57, s58, s57
	s_addc_u32 s58, 0, s59
	s_add_u32 s48, s48, s57
	s_cselect_b32 s57, -1, 0
	s_mul_hi_u32 s59, s49, s48
	s_cmp_lg_u32 s57, 0
	s_mul_i32 s57, s49, s48
	s_addc_u32 s0, s0, s58
	s_mul_i32 s56, s56, s48
	s_mul_i32 s49, s49, s0
	s_mul_hi_u32 s58, s48, s57
	s_add_i32 s49, s59, s49
	s_mul_hi_u32 s59, s0, s57
	s_add_i32 s49, s49, s56
	s_mul_i32 s56, s0, s57
	s_mul_i32 s61, s48, s49
	s_mul_hi_u32 s60, s48, s49
	s_add_u32 s58, s58, s61
	s_addc_u32 s60, 0, s60
	s_mul_hi_u32 s57, s0, s49
	s_add_u32 s56, s58, s56
	s_mul_i32 s49, s0, s49
	s_addc_u32 s56, s60, s59
	s_addc_u32 s57, s57, 0
	s_add_u32 s49, s56, s49
	s_addc_u32 s56, 0, s57
	s_add_u32 s48, s48, s49
	s_cselect_b32 s49, -1, 0
	v_mul_hi_u32 v21, v3, s48
	s_cmp_lg_u32 s49, 0
	v_mad_u64_u32 v[12:13], null, v20, s48, 0
	s_addc_u32 s0, s0, s56
	v_mad_u64_u32 v[10:11], null, v3, s0, 0
	v_mad_u64_u32 v[17:18], null, v20, s0, 0
	v_add_co_u32 v10, vcc_lo, v21, v10
	v_add_co_ci_u32_e64 v11, null, 0, v11, vcc_lo
	v_add_co_u32 v10, vcc_lo, v10, v12
	v_add_co_ci_u32_e32 v10, vcc_lo, v11, v13, vcc_lo
	v_add_co_ci_u32_e32 v11, vcc_lo, 0, v18, vcc_lo
	v_add_co_u32 v10, vcc_lo, v10, v17
	v_add_co_ci_u32_e64 v12, null, 0, v11, vcc_lo
	v_mul_lo_u32 v13, s47, v10
	v_mad_u64_u32 v[10:11], null, s46, v10, 0
	v_mul_lo_u32 v12, s46, v12
	v_sub_co_u32 v3, vcc_lo, v3, v10
	v_add3_u32 v11, v11, v12, v13
	v_cmp_le_u32_e64 s0, s46, v3
	v_sub_nc_u32_e32 v12, v20, v11
	v_sub_co_ci_u32_e64 v11, null, v20, v11, vcc_lo
	v_cndmask_b32_e64 v17, 0, -1, s0
	v_subrev_co_ci_u32_e64 v10, null, s47, v12, vcc_lo
	v_sub_co_u32 v12, vcc_lo, v3, s46
	v_subrev_co_ci_u32_e64 v13, null, 0, v10, vcc_lo
	v_cmp_le_u32_e64 s0, s46, v12
	v_subrev_co_ci_u32_e64 v10, null, s47, v10, vcc_lo
	v_cmp_le_u32_e32 vcc_lo, s47, v11
	v_cndmask_b32_e64 v18, 0, -1, s0
	v_cmp_le_u32_e64 s0, s47, v13
	v_cndmask_b32_e64 v21, 0, -1, vcc_lo
	v_cmp_eq_u32_e32 vcc_lo, s47, v13
	v_cndmask_b32_e64 v20, 0, -1, s0
	v_cmp_eq_u32_e64 s0, s47, v11
	v_cndmask_b32_e32 v18, v20, v18, vcc_lo
	v_sub_co_u32 v20, vcc_lo, v12, s46
	v_subrev_co_ci_u32_e64 v10, null, 0, v10, vcc_lo
	v_cmp_ne_u32_e32 vcc_lo, 0, v18
	v_cndmask_b32_e64 v17, v21, v17, s0
	v_cndmask_b32_e32 v10, v13, v10, vcc_lo
	v_cndmask_b32_e32 v12, v12, v20, vcc_lo
	v_cmp_ne_u32_e32 vcc_lo, 0, v17
	v_cndmask_b32_e32 v3, v3, v12, vcc_lo
	v_cndmask_b32_e32 v10, v11, v10, vcc_lo
                                        ; implicit-def: $vgpr12_vgpr13
	v_xor_b32_e32 v3, v3, v19
	v_xor_b32_e32 v11, v10, v19
	v_sub_co_u32 v10, vcc_lo, v3, v19
	v_sub_co_ci_u32_e64 v11, null, v11, v19, vcc_lo
.LBB1_17:                               ;   in Loop: Header=BB1_3 Depth=1
	s_andn2_saveexec_b32 s0, s45
	s_cbranch_execz .LBB1_19
; %bb.18:                               ;   in Loop: Header=BB1_3 Depth=1
	v_cvt_f32_u32_e32 v3, s14
	s_sub_i32 s45, 0, s14
	v_mov_b32_e32 v11, v2
	v_rcp_iflag_f32_e32 v3, v3
	v_mul_f32_e32 v3, 0x4f7ffffe, v3
	v_cvt_u32_f32_e32 v3, v3
	v_mul_lo_u32 v10, s45, v3
	v_mul_hi_u32 v10, v3, v10
	v_add_nc_u32_e32 v3, v3, v10
	v_mul_hi_u32 v3, v12, v3
	v_mul_lo_u32 v3, v3, s14
	v_sub_nc_u32_e32 v3, v12, v3
	v_subrev_nc_u32_e32 v10, s14, v3
	v_cmp_le_u32_e32 vcc_lo, s14, v3
	v_cndmask_b32_e32 v3, v3, v10, vcc_lo
	v_subrev_nc_u32_e32 v10, s14, v3
	v_cmp_le_u32_e32 vcc_lo, s14, v3
	v_cndmask_b32_e32 v10, v3, v10, vcc_lo
.LBB1_19:                               ;   in Loop: Header=BB1_3 Depth=1
	s_or_b32 exec_lo, exec_lo, s0
	v_mul_lo_u32 v3, v7, s8
	v_mul_lo_u32 v12, v6, s9
	v_mad_u64_u32 v[6:7], null, v6, s8, 0
	v_mul_lo_u32 v19, s27, v8
	v_mul_lo_u32 v20, s26, v9
	;; [unrolled: 1-line block ×4, first 2 shown]
	s_mov_b32 s45, -1
	s_mov_b32 s0, -1
	v_add3_u32 v7, v7, v12, v3
	v_sub_co_u32 v3, vcc_lo, v16, v6
	s_mov_b32 s46, exec_lo
	v_sub_co_ci_u32_e64 v12, null, v15, v7, vcc_lo
	v_mul_lo_u32 v13, s25, v3
	v_mad_u64_u32 v[6:7], null, s24, v3, 0
	v_mul_lo_u32 v17, s24, v12
	v_mad_u64_u32 v[15:16], null, s26, v8, 0
	v_add3_u32 v7, v7, v17, v13
	v_mad_u64_u32 v[17:18], null, s28, v10, 0
	v_add3_u32 v16, v16, v20, v19
	v_lshlrev_b64 v[6:7], 3, v[6:7]
	v_lshlrev_b64 v[15:16], 3, v[15:16]
	v_add3_u32 v18, v18, v22, v21
	v_add_co_u32 v13, vcc_lo, s40, v6
	v_add_co_ci_u32_e64 v19, null, s41, v7, vcc_lo
	v_lshlrev_b64 v[6:7], 3, v[17:18]
	v_add_co_u32 v13, vcc_lo, v13, v15
	v_add_co_ci_u32_e64 v15, null, v19, v16, vcc_lo
	v_add_co_u32 v6, vcc_lo, v13, v6
	v_add_co_ci_u32_e64 v7, null, v15, v7, vcc_lo
	v_mov_b32_e32 v13, 0
	global_load_dwordx2 v[6:7], v[6:7], off
	s_waitcnt vmcnt(0)
	v_cmpx_ne_u64_e64 s[38:39], v[6:7]
	s_cbranch_execz .LBB1_26
; %bb.20:                               ;   in Loop: Header=BB1_3 Depth=1
	v_cmp_lt_i64_e32 vcc_lo, -1, v[6:7]
	v_cmp_gt_i64_e64 s0, s[10:11], v[6:7]
	v_mov_b32_e32 v13, 0
	s_mov_b32 s47, 0
	s_and_b32 s48, vcc_lo, s0
	s_and_saveexec_b32 s0, s48
	s_cbranch_execz .LBB1_25
; %bb.21:                               ;   in Loop: Header=BB1_3 Depth=1
	v_mul_lo_u32 v13, s17, v3
	v_mul_lo_u32 v19, s16, v12
	v_mad_u64_u32 v[15:16], null, s16, v3, 0
	v_mul_lo_u32 v21, s19, v6
	v_mul_lo_u32 v22, s18, v7
	v_mad_u64_u32 v[17:18], null, s18, v6, 0
	v_mul_lo_u32 v23, s20, v9
	v_mul_lo_u32 v24, s23, v10
	v_add3_u32 v16, v16, v19, v13
	v_mul_lo_u32 v13, s21, v8
	v_mad_u64_u32 v[19:20], null, s20, v8, 0
	v_add3_u32 v18, v18, v22, v21
	v_lshlrev_b64 v[15:16], 2, v[15:16]
	v_mul_lo_u32 v25, s22, v11
	v_mad_u64_u32 v[21:22], null, s22, v10, 0
	v_lshlrev_b64 v[17:18], 2, v[17:18]
	v_add3_u32 v20, v20, v23, v13
	v_add_co_u32 v13, vcc_lo, s34, v15
	v_add_co_ci_u32_e64 v23, null, s35, v16, vcc_lo
	v_lshlrev_b64 v[15:16], 2, v[19:20]
	v_add3_u32 v22, v22, v25, v24
	v_add_co_u32 v13, vcc_lo, v13, v17
	v_add_co_ci_u32_e64 v19, null, v23, v18, vcc_lo
	v_lshlrev_b64 v[17:18], 2, v[21:22]
	v_add_co_u32 v13, vcc_lo, v13, v15
	v_add_co_ci_u32_e64 v16, null, v19, v16, vcc_lo
	v_add_co_u32 v15, vcc_lo, v13, v17
	v_add_co_ci_u32_e64 v16, null, v16, v18, vcc_lo
	s_andn2_b32 vcc_lo, exec_lo, s51
	global_load_dword v13, v[15:16], off
	s_cbranch_vccnz .LBB1_23
; %bb.22:                               ;   in Loop: Header=BB1_3 Depth=1
	v_lshlrev_b64 v[6:7], 2, v[6:7]
	v_add_co_u32 v6, vcc_lo, s36, v6
	v_add_co_ci_u32_e64 v7, null, s37, v7, vcc_lo
	global_load_dword v6, v[6:7], off
	s_branch .LBB1_24
.LBB1_23:                               ;   in Loop: Header=BB1_3 Depth=1
	v_mov_b32_e32 v6, 1.0
.LBB1_24:                               ;   in Loop: Header=BB1_3 Depth=1
	s_mov_b32 s47, exec_lo
	s_waitcnt vmcnt(0)
	v_mul_f32_e64 v13, v6, -v13
.LBB1_25:                               ;   in Loop: Header=BB1_3 Depth=1
	s_or_b32 exec_lo, exec_lo, s0
	s_orn2_b32 s0, s47, exec_lo
.LBB1_26:                               ;   in Loop: Header=BB1_3 Depth=1
	s_or_b32 exec_lo, exec_lo, s46
	s_or_b32 s55, s55, exec_lo
	s_and_saveexec_b32 s46, s0
	s_cbranch_execz .LBB1_2
; %bb.27:                               ;   in Loop: Header=BB1_3 Depth=1
	v_mul_lo_u32 v15, s5, v3
	v_mul_lo_u32 v12, s4, v12
	v_mad_u64_u32 v[6:7], null, s4, v3, 0
	v_mul_lo_u32 v3, s7, v8
	v_mul_lo_u32 v16, s6, v9
	v_mad_u64_u32 v[8:9], null, s6, v8, 0
	v_add_co_u32 v4, s0, v4, 0
	v_add3_u32 v7, v7, v12, v15
	v_mul_lo_u32 v12, s43, v10
	v_mul_lo_u32 v15, s42, v11
	v_mad_u64_u32 v[10:11], null, s42, v10, 0
	v_add3_u32 v9, v9, v16, v3
	v_lshlrev_b64 v[6:7], 2, v[6:7]
	v_add_co_ci_u32_e64 v5, null, s53, v5, s0
	s_andn2_b32 s55, s55, exec_lo
	v_lshlrev_b64 v[8:9], 2, v[8:9]
	v_add3_u32 v11, v11, v15, v12
	v_add_co_u32 v3, vcc_lo, s30, v6
	v_add_co_ci_u32_e64 v6, null, s31, v7, vcc_lo
	v_add_co_u32 v3, vcc_lo, v3, v8
	v_add_co_ci_u32_e64 v8, null, v6, v9, vcc_lo
	v_lshlrev_b64 v[6:7], 2, v[10:11]
	v_add_co_u32 v0, vcc_lo, v0, s50
	v_add_co_ci_u32_e64 v1, null, 0, v1, vcc_lo
	v_add_co_u32 v6, vcc_lo, v3, v6
	v_add_co_ci_u32_e64 v7, null, v8, v7, vcc_lo
	v_cmp_le_i64_e32 vcc_lo, s[2:3], v[0:1]
	global_store_dword v[6:7], v13, off
	s_orn2_b32 s45, vcc_lo, exec_lo
	s_branch .LBB1_2
.LBB1_28:
	s_or_b32 exec_lo, exec_lo, s52
	s_and_saveexec_b32 s0, s54
	s_xor_b32 s0, exec_lo, s0
	s_cbranch_execnz .LBB1_30
.LBB1_29:
	s_endpgm
.LBB1_30:
	s_trap 2
	; divergent unreachable
	s_endpgm
	.section	.rodata,"a",@progbits
	.p2align	6, 0x0
	.amdhsa_kernel _ZN2at6native12_GLOBAL__N_135nll_loss2d_forward_no_reduce_kernelIfEEvlN5torch10headeronly6detail27GenericPackedTensorAccessorINS5_14TensorAccessorIN3c108ArrayRefIlEET_Lm3ENS4_16DefaultPtrTraitsElEENS_6detail16IndexBoundsCheckILm4ElEESB_Lm4ESC_lEENS6_INS7_ISA_lLm2ESC_lEENSF_ILm3ElEElLm3ESC_lEENS6_INS7_ISA_SB_Lm2ESC_lEESJ_SB_Lm3ESC_lEEPKSB_l
		.amdhsa_group_segment_fixed_size 0
		.amdhsa_private_segment_fixed_size 0
		.amdhsa_kernarg_size 464
		.amdhsa_user_sgpr_count 6
		.amdhsa_user_sgpr_private_segment_buffer 1
		.amdhsa_user_sgpr_dispatch_ptr 0
		.amdhsa_user_sgpr_queue_ptr 0
		.amdhsa_user_sgpr_kernarg_segment_ptr 1
		.amdhsa_user_sgpr_dispatch_id 0
		.amdhsa_user_sgpr_flat_scratch_init 0
		.amdhsa_user_sgpr_private_segment_size 0
		.amdhsa_wavefront_size32 1
		.amdhsa_uses_dynamic_stack 0
		.amdhsa_system_sgpr_private_segment_wavefront_offset 0
		.amdhsa_system_sgpr_workgroup_id_x 1
		.amdhsa_system_sgpr_workgroup_id_y 0
		.amdhsa_system_sgpr_workgroup_id_z 0
		.amdhsa_system_sgpr_workgroup_info 0
		.amdhsa_system_vgpr_workitem_id 0
		.amdhsa_next_free_vgpr 26
		.amdhsa_next_free_sgpr 65
		.amdhsa_reserve_vcc 1
		.amdhsa_reserve_flat_scratch 0
		.amdhsa_float_round_mode_32 0
		.amdhsa_float_round_mode_16_64 0
		.amdhsa_float_denorm_mode_32 3
		.amdhsa_float_denorm_mode_16_64 3
		.amdhsa_dx10_clamp 1
		.amdhsa_ieee_mode 1
		.amdhsa_fp16_overflow 0
		.amdhsa_workgroup_processor_mode 1
		.amdhsa_memory_ordered 1
		.amdhsa_forward_progress 1
		.amdhsa_shared_vgpr_count 0
		.amdhsa_exception_fp_ieee_invalid_op 0
		.amdhsa_exception_fp_denorm_src 0
		.amdhsa_exception_fp_ieee_div_zero 0
		.amdhsa_exception_fp_ieee_overflow 0
		.amdhsa_exception_fp_ieee_underflow 0
		.amdhsa_exception_fp_ieee_inexact 0
		.amdhsa_exception_int_div_zero 0
	.end_amdhsa_kernel
	.section	.text._ZN2at6native12_GLOBAL__N_135nll_loss2d_forward_no_reduce_kernelIfEEvlN5torch10headeronly6detail27GenericPackedTensorAccessorINS5_14TensorAccessorIN3c108ArrayRefIlEET_Lm3ENS4_16DefaultPtrTraitsElEENS_6detail16IndexBoundsCheckILm4ElEESB_Lm4ESC_lEENS6_INS7_ISA_lLm2ESC_lEENSF_ILm3ElEElLm3ESC_lEENS6_INS7_ISA_SB_Lm2ESC_lEESJ_SB_Lm3ESC_lEEPKSB_l,"axG",@progbits,_ZN2at6native12_GLOBAL__N_135nll_loss2d_forward_no_reduce_kernelIfEEvlN5torch10headeronly6detail27GenericPackedTensorAccessorINS5_14TensorAccessorIN3c108ArrayRefIlEET_Lm3ENS4_16DefaultPtrTraitsElEENS_6detail16IndexBoundsCheckILm4ElEESB_Lm4ESC_lEENS6_INS7_ISA_lLm2ESC_lEENSF_ILm3ElEElLm3ESC_lEENS6_INS7_ISA_SB_Lm2ESC_lEESJ_SB_Lm3ESC_lEEPKSB_l,comdat
.Lfunc_end1:
	.size	_ZN2at6native12_GLOBAL__N_135nll_loss2d_forward_no_reduce_kernelIfEEvlN5torch10headeronly6detail27GenericPackedTensorAccessorINS5_14TensorAccessorIN3c108ArrayRefIlEET_Lm3ENS4_16DefaultPtrTraitsElEENS_6detail16IndexBoundsCheckILm4ElEESB_Lm4ESC_lEENS6_INS7_ISA_lLm2ESC_lEENSF_ILm3ElEElLm3ESC_lEENS6_INS7_ISA_SB_Lm2ESC_lEESJ_SB_Lm3ESC_lEEPKSB_l, .Lfunc_end1-_ZN2at6native12_GLOBAL__N_135nll_loss2d_forward_no_reduce_kernelIfEEvlN5torch10headeronly6detail27GenericPackedTensorAccessorINS5_14TensorAccessorIN3c108ArrayRefIlEET_Lm3ENS4_16DefaultPtrTraitsElEENS_6detail16IndexBoundsCheckILm4ElEESB_Lm4ESC_lEENS6_INS7_ISA_lLm2ESC_lEENSF_ILm3ElEElLm3ESC_lEENS6_INS7_ISA_SB_Lm2ESC_lEESJ_SB_Lm3ESC_lEEPKSB_l
                                        ; -- End function
	.set _ZN2at6native12_GLOBAL__N_135nll_loss2d_forward_no_reduce_kernelIfEEvlN5torch10headeronly6detail27GenericPackedTensorAccessorINS5_14TensorAccessorIN3c108ArrayRefIlEET_Lm3ENS4_16DefaultPtrTraitsElEENS_6detail16IndexBoundsCheckILm4ElEESB_Lm4ESC_lEENS6_INS7_ISA_lLm2ESC_lEENSF_ILm3ElEElLm3ESC_lEENS6_INS7_ISA_SB_Lm2ESC_lEESJ_SB_Lm3ESC_lEEPKSB_l.num_vgpr, 26
	.set _ZN2at6native12_GLOBAL__N_135nll_loss2d_forward_no_reduce_kernelIfEEvlN5torch10headeronly6detail27GenericPackedTensorAccessorINS5_14TensorAccessorIN3c108ArrayRefIlEET_Lm3ENS4_16DefaultPtrTraitsElEENS_6detail16IndexBoundsCheckILm4ElEESB_Lm4ESC_lEENS6_INS7_ISA_lLm2ESC_lEENSF_ILm3ElEElLm3ESC_lEENS6_INS7_ISA_SB_Lm2ESC_lEESJ_SB_Lm3ESC_lEEPKSB_l.num_agpr, 0
	.set _ZN2at6native12_GLOBAL__N_135nll_loss2d_forward_no_reduce_kernelIfEEvlN5torch10headeronly6detail27GenericPackedTensorAccessorINS5_14TensorAccessorIN3c108ArrayRefIlEET_Lm3ENS4_16DefaultPtrTraitsElEENS_6detail16IndexBoundsCheckILm4ElEESB_Lm4ESC_lEENS6_INS7_ISA_lLm2ESC_lEENSF_ILm3ElEElLm3ESC_lEENS6_INS7_ISA_SB_Lm2ESC_lEESJ_SB_Lm3ESC_lEEPKSB_l.numbered_sgpr, 65
	.set _ZN2at6native12_GLOBAL__N_135nll_loss2d_forward_no_reduce_kernelIfEEvlN5torch10headeronly6detail27GenericPackedTensorAccessorINS5_14TensorAccessorIN3c108ArrayRefIlEET_Lm3ENS4_16DefaultPtrTraitsElEENS_6detail16IndexBoundsCheckILm4ElEESB_Lm4ESC_lEENS6_INS7_ISA_lLm2ESC_lEENSF_ILm3ElEElLm3ESC_lEENS6_INS7_ISA_SB_Lm2ESC_lEESJ_SB_Lm3ESC_lEEPKSB_l.num_named_barrier, 0
	.set _ZN2at6native12_GLOBAL__N_135nll_loss2d_forward_no_reduce_kernelIfEEvlN5torch10headeronly6detail27GenericPackedTensorAccessorINS5_14TensorAccessorIN3c108ArrayRefIlEET_Lm3ENS4_16DefaultPtrTraitsElEENS_6detail16IndexBoundsCheckILm4ElEESB_Lm4ESC_lEENS6_INS7_ISA_lLm2ESC_lEENSF_ILm3ElEElLm3ESC_lEENS6_INS7_ISA_SB_Lm2ESC_lEESJ_SB_Lm3ESC_lEEPKSB_l.private_seg_size, 0
	.set _ZN2at6native12_GLOBAL__N_135nll_loss2d_forward_no_reduce_kernelIfEEvlN5torch10headeronly6detail27GenericPackedTensorAccessorINS5_14TensorAccessorIN3c108ArrayRefIlEET_Lm3ENS4_16DefaultPtrTraitsElEENS_6detail16IndexBoundsCheckILm4ElEESB_Lm4ESC_lEENS6_INS7_ISA_lLm2ESC_lEENSF_ILm3ElEElLm3ESC_lEENS6_INS7_ISA_SB_Lm2ESC_lEESJ_SB_Lm3ESC_lEEPKSB_l.uses_vcc, 1
	.set _ZN2at6native12_GLOBAL__N_135nll_loss2d_forward_no_reduce_kernelIfEEvlN5torch10headeronly6detail27GenericPackedTensorAccessorINS5_14TensorAccessorIN3c108ArrayRefIlEET_Lm3ENS4_16DefaultPtrTraitsElEENS_6detail16IndexBoundsCheckILm4ElEESB_Lm4ESC_lEENS6_INS7_ISA_lLm2ESC_lEENSF_ILm3ElEElLm3ESC_lEENS6_INS7_ISA_SB_Lm2ESC_lEESJ_SB_Lm3ESC_lEEPKSB_l.uses_flat_scratch, 0
	.set _ZN2at6native12_GLOBAL__N_135nll_loss2d_forward_no_reduce_kernelIfEEvlN5torch10headeronly6detail27GenericPackedTensorAccessorINS5_14TensorAccessorIN3c108ArrayRefIlEET_Lm3ENS4_16DefaultPtrTraitsElEENS_6detail16IndexBoundsCheckILm4ElEESB_Lm4ESC_lEENS6_INS7_ISA_lLm2ESC_lEENSF_ILm3ElEElLm3ESC_lEENS6_INS7_ISA_SB_Lm2ESC_lEESJ_SB_Lm3ESC_lEEPKSB_l.has_dyn_sized_stack, 0
	.set _ZN2at6native12_GLOBAL__N_135nll_loss2d_forward_no_reduce_kernelIfEEvlN5torch10headeronly6detail27GenericPackedTensorAccessorINS5_14TensorAccessorIN3c108ArrayRefIlEET_Lm3ENS4_16DefaultPtrTraitsElEENS_6detail16IndexBoundsCheckILm4ElEESB_Lm4ESC_lEENS6_INS7_ISA_lLm2ESC_lEENSF_ILm3ElEElLm3ESC_lEENS6_INS7_ISA_SB_Lm2ESC_lEESJ_SB_Lm3ESC_lEEPKSB_l.has_recursion, 0
	.set _ZN2at6native12_GLOBAL__N_135nll_loss2d_forward_no_reduce_kernelIfEEvlN5torch10headeronly6detail27GenericPackedTensorAccessorINS5_14TensorAccessorIN3c108ArrayRefIlEET_Lm3ENS4_16DefaultPtrTraitsElEENS_6detail16IndexBoundsCheckILm4ElEESB_Lm4ESC_lEENS6_INS7_ISA_lLm2ESC_lEENSF_ILm3ElEElLm3ESC_lEENS6_INS7_ISA_SB_Lm2ESC_lEESJ_SB_Lm3ESC_lEEPKSB_l.has_indirect_call, 0
	.section	.AMDGPU.csdata,"",@progbits
; Kernel info:
; codeLenInByte = 4132
; TotalNumSgprs: 67
; NumVgprs: 26
; ScratchSize: 0
; MemoryBound: 0
; FloatMode: 240
; IeeeMode: 1
; LDSByteSize: 0 bytes/workgroup (compile time only)
; SGPRBlocks: 0
; VGPRBlocks: 3
; NumSGPRsForWavesPerEU: 67
; NumVGPRsForWavesPerEU: 26
; Occupancy: 16
; WaveLimiterHint : 1
; COMPUTE_PGM_RSRC2:SCRATCH_EN: 0
; COMPUTE_PGM_RSRC2:USER_SGPR: 6
; COMPUTE_PGM_RSRC2:TRAP_HANDLER: 0
; COMPUTE_PGM_RSRC2:TGID_X_EN: 1
; COMPUTE_PGM_RSRC2:TGID_Y_EN: 0
; COMPUTE_PGM_RSRC2:TGID_Z_EN: 0
; COMPUTE_PGM_RSRC2:TIDIG_COMP_CNT: 0
	.section	.text._ZN2at6native12_GLOBAL__N_135nll_loss2d_forward_no_reduce_kernelIN3c104HalfEEEvlN5torch10headeronly6detail27GenericPackedTensorAccessorINS7_14TensorAccessorINS3_8ArrayRefIlEET_Lm3ENS6_16DefaultPtrTraitsElEENS_6detail16IndexBoundsCheckILm4ElEESC_Lm4ESD_lEENS8_INS9_ISB_lLm2ESD_lEENSG_ILm3ElEElLm3ESD_lEENS8_INS9_ISB_SC_Lm2ESD_lEESK_SC_Lm3ESD_lEEPKSC_l,"axG",@progbits,_ZN2at6native12_GLOBAL__N_135nll_loss2d_forward_no_reduce_kernelIN3c104HalfEEEvlN5torch10headeronly6detail27GenericPackedTensorAccessorINS7_14TensorAccessorINS3_8ArrayRefIlEET_Lm3ENS6_16DefaultPtrTraitsElEENS_6detail16IndexBoundsCheckILm4ElEESC_Lm4ESD_lEENS8_INS9_ISB_lLm2ESD_lEENSG_ILm3ElEElLm3ESD_lEENS8_INS9_ISB_SC_Lm2ESD_lEESK_SC_Lm3ESD_lEEPKSC_l,comdat
	.globl	_ZN2at6native12_GLOBAL__N_135nll_loss2d_forward_no_reduce_kernelIN3c104HalfEEEvlN5torch10headeronly6detail27GenericPackedTensorAccessorINS7_14TensorAccessorINS3_8ArrayRefIlEET_Lm3ENS6_16DefaultPtrTraitsElEENS_6detail16IndexBoundsCheckILm4ElEESC_Lm4ESD_lEENS8_INS9_ISB_lLm2ESD_lEENSG_ILm3ElEElLm3ESD_lEENS8_INS9_ISB_SC_Lm2ESD_lEESK_SC_Lm3ESD_lEEPKSC_l ; -- Begin function _ZN2at6native12_GLOBAL__N_135nll_loss2d_forward_no_reduce_kernelIN3c104HalfEEEvlN5torch10headeronly6detail27GenericPackedTensorAccessorINS7_14TensorAccessorINS3_8ArrayRefIlEET_Lm3ENS6_16DefaultPtrTraitsElEENS_6detail16IndexBoundsCheckILm4ElEESC_Lm4ESD_lEENS8_INS9_ISB_lLm2ESD_lEENSG_ILm3ElEElLm3ESD_lEENS8_INS9_ISB_SC_Lm2ESD_lEESK_SC_Lm3ESD_lEEPKSC_l
	.p2align	8
	.type	_ZN2at6native12_GLOBAL__N_135nll_loss2d_forward_no_reduce_kernelIN3c104HalfEEEvlN5torch10headeronly6detail27GenericPackedTensorAccessorINS7_14TensorAccessorINS3_8ArrayRefIlEET_Lm3ENS6_16DefaultPtrTraitsElEENS_6detail16IndexBoundsCheckILm4ElEESC_Lm4ESD_lEENS8_INS9_ISB_lLm2ESD_lEENSG_ILm3ElEElLm3ESD_lEENS8_INS9_ISB_SC_Lm2ESD_lEESK_SC_Lm3ESD_lEEPKSC_l,@function
_ZN2at6native12_GLOBAL__N_135nll_loss2d_forward_no_reduce_kernelIN3c104HalfEEEvlN5torch10headeronly6detail27GenericPackedTensorAccessorINS7_14TensorAccessorINS3_8ArrayRefIlEET_Lm3ENS6_16DefaultPtrTraitsElEENS_6detail16IndexBoundsCheckILm4ElEESC_Lm4ESD_lEENS8_INS9_ISB_lLm2ESD_lEENSG_ILm3ElEElLm3ESD_lEENS8_INS9_ISB_SC_Lm2ESD_lEESK_SC_Lm3ESD_lEEPKSC_l: ; @_ZN2at6native12_GLOBAL__N_135nll_loss2d_forward_no_reduce_kernelIN3c104HalfEEEvlN5torch10headeronly6detail27GenericPackedTensorAccessorINS7_14TensorAccessorINS3_8ArrayRefIlEET_Lm3ENS6_16DefaultPtrTraitsElEENS_6detail16IndexBoundsCheckILm4ElEESC_Lm4ESD_lEENS8_INS9_ISB_lLm2ESD_lEENSG_ILm3ElEElLm3ESD_lEENS8_INS9_ISB_SC_Lm2ESD_lEESK_SC_Lm3ESD_lEEPKSC_l
; %bb.0:
	s_clause 0x1
	s_load_dword s7, s[4:5], 0xdc
	s_load_dwordx2 s[2:3], s[4:5], 0x0
	v_mov_b32_e32 v2, 0
	s_add_u32 s0, s4, 0xd0
	s_addc_u32 s1, s5, 0
	v_mov_b32_e32 v1, v2
	s_waitcnt lgkmcnt(0)
	s_and_b32 s44, s7, 0xffff
	v_mad_u64_u32 v[0:1], null, s44, s6, v[0:1]
	s_mov_b32 s6, exec_lo
	v_cmpx_gt_i64_e64 s[2:3], v[0:1]
	s_cbranch_execz .LBB2_31
; %bb.1:
	s_clause 0x1
	s_load_dwordx8 s[8:15], s[4:5], 0x10
	s_load_dwordx4 s[36:39], s[4:5], 0xc0
	s_load_dword s0, s[0:1], 0x0
	s_clause 0x5
	s_load_dwordx2 s[34:35], s[4:5], 0x8
	s_load_dwordx8 s[16:23], s[4:5], 0x30
	s_load_dwordx2 s[40:41], s[4:5], 0x50
	s_load_dwordx8 s[24:31], s[4:5], 0x70
	s_load_dwordx2 s[42:43], s[4:5], 0xb8
	s_load_dwordx4 s[4:7], s[4:5], 0xa8
	s_mov_b32 s52, 0
                                        ; implicit-def: $sgpr54
                                        ; implicit-def: $sgpr55
	s_waitcnt lgkmcnt(0)
	v_cvt_f32_u32_e32 v3, s8
	s_mul_i32 s33, s12, s9
	s_mul_hi_u32 s45, s12, s8
	s_mul_i32 s46, s13, s8
	s_add_i32 s33, s45, s33
	v_rcp_iflag_f32_e32 v4, v3
	v_mov_b32_e32 v3, v0
	s_add_i32 s33, s33, s46
	s_cmp_lg_u64 s[36:37], 0
	s_mul_i32 s50, s0, s44
	s_mul_i32 s1, s12, s8
	s_cselect_b32 s51, -1, 0
	s_mov_b32 s53, s50
	s_ashr_i32 s44, s9, 31
	v_mul_f32_e32 v4, 0x4f7ffffe, v4
	v_cvt_u32_f32_e32 v14, v4
	v_mov_b32_e32 v5, v3
	v_mov_b32_e32 v4, v2
	s_branch .LBB2_3
.LBB2_2:                                ;   in Loop: Header=BB2_3 Depth=1
	s_or_b32 exec_lo, exec_lo, s45
	s_and_b32 s0, exec_lo, s46
	s_or_b32 s52, s0, s52
	s_andn2_b32 s0, s54, exec_lo
	s_and_b32 s45, s55, exec_lo
	s_or_b32 s54, s0, s45
	s_andn2_b32 exec_lo, exec_lo, s52
	s_cbranch_execz .LBB2_30
.LBB2_3:                                ; =>This Inner Loop Header: Depth=1
	v_ashrrev_i32_e32 v15, 31, v5
	v_mov_b32_e32 v16, v5
                                        ; implicit-def: $vgpr6_vgpr7
	s_mov_b32 s0, exec_lo
	v_or_b32_e32 v3, s9, v15
	v_ashrrev_i32_e32 v10, 31, v15
	v_cmpx_ne_u64_e32 0, v[2:3]
	s_xor_b32 s48, exec_lo, s0
	s_cbranch_execz .LBB2_5
; %bb.4:                                ;   in Loop: Header=BB2_3 Depth=1
	s_add_u32 s46, s8, s44
	s_mov_b32 s45, s44
	s_addc_u32 s47, s9, s44
	v_add_co_u32 v7, vcc_lo, v16, v10
	s_xor_b64 s[46:47], s[46:47], s[44:45]
	v_add_co_ci_u32_e64 v8, null, v15, v10, vcc_lo
	v_cvt_f32_u32_e32 v3, s46
	v_cvt_f32_u32_e32 v6, s47
	s_sub_u32 s49, 0, s46
	s_subb_u32 s56, 0, s47
	v_xor_b32_e32 v13, v8, v10
	v_fmac_f32_e32 v3, 0x4f800000, v6
	v_rcp_f32_e32 v3, v3
	v_mul_f32_e32 v3, 0x5f7ffffc, v3
	v_mul_f32_e32 v6, 0x2f800000, v3
	v_trunc_f32_e32 v6, v6
	v_fmac_f32_e32 v3, 0xcf800000, v6
	v_cvt_u32_f32_e32 v6, v6
	v_cvt_u32_f32_e32 v3, v3
	v_readfirstlane_b32 s0, v6
	v_readfirstlane_b32 s45, v3
	s_mul_i32 s57, s49, s0
	v_xor_b32_e32 v3, v7, v10
	s_mul_hi_u32 s59, s49, s45
	s_mul_i32 s58, s56, s45
	s_add_i32 s57, s59, s57
	s_mul_i32 s60, s49, s45
	s_add_i32 s57, s57, s58
	s_mul_hi_u32 s59, s45, s60
	s_mul_i32 s62, s45, s57
	s_mul_hi_u32 s61, s0, s60
	s_mul_i32 s58, s0, s60
	s_mul_hi_u32 s60, s45, s57
	s_add_u32 s59, s59, s62
	s_addc_u32 s60, 0, s60
	s_mul_hi_u32 s63, s0, s57
	s_add_u32 s58, s59, s58
	s_mul_i32 s57, s0, s57
	s_addc_u32 s58, s60, s61
	s_addc_u32 s59, s63, 0
	s_add_u32 s57, s58, s57
	s_addc_u32 s58, 0, s59
	s_add_u32 s45, s45, s57
	s_cselect_b32 s57, -1, 0
	s_mul_hi_u32 s59, s49, s45
	s_cmp_lg_u32 s57, 0
	s_mul_i32 s57, s49, s45
	s_addc_u32 s0, s0, s58
	s_mul_i32 s56, s56, s45
	s_mul_i32 s49, s49, s0
	s_mul_hi_u32 s58, s45, s57
	s_add_i32 s49, s59, s49
	s_mul_hi_u32 s59, s0, s57
	s_add_i32 s49, s49, s56
	s_mul_i32 s56, s0, s57
	s_mul_i32 s61, s45, s49
	s_mul_hi_u32 s60, s45, s49
	s_add_u32 s58, s58, s61
	s_addc_u32 s60, 0, s60
	s_mul_hi_u32 s57, s0, s49
	s_add_u32 s56, s58, s56
	s_mul_i32 s49, s0, s49
	s_addc_u32 s56, s60, s59
	s_addc_u32 s57, s57, 0
	s_add_u32 s49, s56, s49
	s_addc_u32 s56, 0, s57
	s_add_u32 s45, s45, s49
	s_cselect_b32 s49, -1, 0
	v_mul_hi_u32 v17, v3, s45
	s_cmp_lg_u32 s49, 0
	v_mad_u64_u32 v[8:9], null, v13, s45, 0
	s_addc_u32 s0, s0, s56
	v_mad_u64_u32 v[6:7], null, v3, s0, 0
	v_mad_u64_u32 v[11:12], null, v13, s0, 0
	v_add_co_u32 v6, vcc_lo, v17, v6
	v_add_co_ci_u32_e64 v7, null, 0, v7, vcc_lo
	v_add_co_u32 v6, vcc_lo, v6, v8
	v_add_co_ci_u32_e32 v6, vcc_lo, v7, v9, vcc_lo
	v_add_co_ci_u32_e32 v7, vcc_lo, 0, v12, vcc_lo
	v_add_co_u32 v8, vcc_lo, v6, v11
	v_add_co_ci_u32_e64 v9, null, 0, v7, vcc_lo
	v_mul_lo_u32 v11, s47, v8
	v_mad_u64_u32 v[6:7], null, s46, v8, 0
	v_mul_lo_u32 v12, s46, v9
	v_sub_co_u32 v3, vcc_lo, v3, v6
	v_add3_u32 v7, v7, v12, v11
	v_sub_nc_u32_e32 v11, v13, v7
	v_sub_co_ci_u32_e64 v7, null, v13, v7, vcc_lo
	v_subrev_co_ci_u32_e64 v6, null, s47, v11, vcc_lo
	v_add_co_u32 v11, s0, v8, 2
	v_add_co_ci_u32_e64 v12, null, 0, v9, s0
	v_sub_co_u32 v17, s0, v3, s46
	v_subrev_co_ci_u32_e64 v6, null, 0, v6, s0
	v_cmp_le_u32_e32 vcc_lo, s46, v17
	v_cndmask_b32_e64 v13, 0, -1, vcc_lo
	v_cmp_le_u32_e32 vcc_lo, s47, v6
	v_cndmask_b32_e64 v17, 0, -1, vcc_lo
	;; [unrolled: 2-line block ×4, first 2 shown]
	v_cmp_eq_u32_e32 vcc_lo, s47, v6
	v_cndmask_b32_e32 v6, v17, v13, vcc_lo
	v_add_co_u32 v13, vcc_lo, v8, 1
	v_add_co_ci_u32_e64 v17, null, 0, v9, vcc_lo
	v_cmp_eq_u32_e32 vcc_lo, s47, v7
	v_xor_b32_e32 v7, s44, v10
	v_cndmask_b32_e32 v3, v18, v3, vcc_lo
	v_cmp_ne_u32_e32 vcc_lo, 0, v6
	v_cmp_ne_u32_e64 s0, 0, v3
	v_cndmask_b32_e32 v3, v13, v11, vcc_lo
	v_cndmask_b32_e32 v6, v17, v12, vcc_lo
	v_cndmask_b32_e64 v3, v8, v3, s0
	v_cndmask_b32_e64 v6, v9, v6, s0
	v_xor_b32_e32 v3, v3, v7
	v_xor_b32_e32 v8, v6, v7
	v_sub_co_u32 v6, vcc_lo, v3, v7
	v_sub_co_ci_u32_e64 v7, null, v8, v7, vcc_lo
.LBB2_5:                                ;   in Loop: Header=BB2_3 Depth=1
	s_andn2_saveexec_b32 s0, s48
	s_cbranch_execz .LBB2_7
; %bb.6:                                ;   in Loop: Header=BB2_3 Depth=1
	s_sub_i32 s45, 0, s8
	v_mul_lo_u32 v3, s45, v14
	v_mul_hi_u32 v3, v14, v3
	v_add_nc_u32_e32 v3, v14, v3
	v_mul_hi_u32 v3, v16, v3
	v_mul_lo_u32 v6, v3, s8
	v_add_nc_u32_e32 v7, 1, v3
	v_sub_nc_u32_e32 v6, v16, v6
	v_subrev_nc_u32_e32 v8, s8, v6
	v_cmp_le_u32_e32 vcc_lo, s8, v6
	v_cndmask_b32_e32 v6, v6, v8, vcc_lo
	v_cndmask_b32_e32 v3, v3, v7, vcc_lo
	v_cmp_le_u32_e32 vcc_lo, s8, v6
	v_add_nc_u32_e32 v7, 1, v3
	v_cndmask_b32_e32 v6, v3, v7, vcc_lo
	v_mov_b32_e32 v7, v2
.LBB2_7:                                ;   in Loop: Header=BB2_3 Depth=1
	s_or_b32 exec_lo, exec_lo, s0
	v_or_b32_e32 v3, s13, v7
                                        ; implicit-def: $vgpr8_vgpr9
	s_mov_b32 s0, exec_lo
	v_cmpx_ne_u64_e32 0, v[2:3]
	s_xor_b32 s45, exec_lo, s0
	s_cbranch_execz .LBB2_9
; %bb.8:                                ;   in Loop: Header=BB2_3 Depth=1
	s_ashr_i32 s46, s13, 31
	v_ashrrev_i32_e32 v13, 31, v7
	s_add_u32 s48, s12, s46
	s_mov_b32 s47, s46
	s_addc_u32 s49, s13, s46
	s_xor_b64 s[46:47], s[48:49], s[46:47]
	v_add_co_u32 v9, vcc_lo, v6, v13
	v_cvt_f32_u32_e32 v3, s46
	v_cvt_f32_u32_e32 v8, s47
	s_sub_u32 s49, 0, s46
	s_subb_u32 s56, 0, s47
	v_add_co_ci_u32_e64 v11, null, v7, v13, vcc_lo
	v_fmac_f32_e32 v3, 0x4f800000, v8
	v_xor_b32_e32 v19, v11, v13
	v_rcp_f32_e32 v3, v3
	v_mul_f32_e32 v3, 0x5f7ffffc, v3
	v_mul_f32_e32 v8, 0x2f800000, v3
	v_trunc_f32_e32 v8, v8
	v_fmac_f32_e32 v3, 0xcf800000, v8
	v_cvt_u32_f32_e32 v8, v8
	v_cvt_u32_f32_e32 v3, v3
	v_readfirstlane_b32 s0, v8
	v_readfirstlane_b32 s48, v3
	s_mul_i32 s57, s49, s0
	v_xor_b32_e32 v3, v9, v13
	s_mul_hi_u32 s59, s49, s48
	s_mul_i32 s58, s56, s48
	s_add_i32 s57, s59, s57
	s_mul_i32 s60, s49, s48
	s_add_i32 s57, s57, s58
	s_mul_hi_u32 s59, s48, s60
	s_mul_i32 s62, s48, s57
	s_mul_hi_u32 s61, s0, s60
	s_mul_i32 s58, s0, s60
	s_mul_hi_u32 s60, s48, s57
	s_add_u32 s59, s59, s62
	s_addc_u32 s60, 0, s60
	s_mul_hi_u32 s63, s0, s57
	s_add_u32 s58, s59, s58
	s_mul_i32 s57, s0, s57
	s_addc_u32 s58, s60, s61
	s_addc_u32 s59, s63, 0
	s_add_u32 s57, s58, s57
	s_addc_u32 s58, 0, s59
	s_add_u32 s48, s48, s57
	s_cselect_b32 s57, -1, 0
	s_mul_hi_u32 s59, s49, s48
	s_cmp_lg_u32 s57, 0
	s_mul_i32 s57, s49, s48
	s_addc_u32 s0, s0, s58
	s_mul_i32 s56, s56, s48
	s_mul_i32 s49, s49, s0
	s_mul_hi_u32 s58, s48, s57
	s_add_i32 s49, s59, s49
	s_mul_hi_u32 s59, s0, s57
	s_add_i32 s49, s49, s56
	s_mul_i32 s56, s0, s57
	s_mul_i32 s61, s48, s49
	s_mul_hi_u32 s60, s48, s49
	s_add_u32 s58, s58, s61
	s_addc_u32 s60, 0, s60
	s_mul_hi_u32 s57, s0, s49
	s_add_u32 s56, s58, s56
	s_mul_i32 s49, s0, s49
	s_addc_u32 s56, s60, s59
	s_addc_u32 s57, s57, 0
	s_add_u32 s49, s56, s49
	s_addc_u32 s56, 0, s57
	s_add_u32 s48, s48, s49
	s_cselect_b32 s49, -1, 0
	v_mul_hi_u32 v20, v3, s48
	s_cmp_lg_u32 s49, 0
	v_mad_u64_u32 v[11:12], null, v19, s48, 0
	s_addc_u32 s0, s0, s56
	v_mad_u64_u32 v[8:9], null, v3, s0, 0
	v_mad_u64_u32 v[17:18], null, v19, s0, 0
	v_add_co_u32 v8, vcc_lo, v20, v8
	v_add_co_ci_u32_e64 v9, null, 0, v9, vcc_lo
	v_add_co_u32 v8, vcc_lo, v8, v11
	v_add_co_ci_u32_e32 v8, vcc_lo, v9, v12, vcc_lo
	v_add_co_ci_u32_e32 v9, vcc_lo, 0, v18, vcc_lo
	v_add_co_u32 v8, vcc_lo, v8, v17
	v_add_co_ci_u32_e64 v11, null, 0, v9, vcc_lo
	v_mul_lo_u32 v12, s47, v8
	v_mad_u64_u32 v[8:9], null, s46, v8, 0
	v_mul_lo_u32 v11, s46, v11
	v_sub_co_u32 v3, vcc_lo, v3, v8
	v_add3_u32 v9, v9, v11, v12
	v_cmp_le_u32_e64 s0, s46, v3
	v_sub_nc_u32_e32 v11, v19, v9
	v_sub_co_ci_u32_e64 v9, null, v19, v9, vcc_lo
	v_cndmask_b32_e64 v17, 0, -1, s0
	v_subrev_co_ci_u32_e64 v8, null, s47, v11, vcc_lo
	v_sub_co_u32 v11, vcc_lo, v3, s46
	v_subrev_co_ci_u32_e64 v12, null, 0, v8, vcc_lo
	v_cmp_le_u32_e64 s0, s46, v11
	v_subrev_co_ci_u32_e64 v8, null, s47, v8, vcc_lo
	v_cmp_le_u32_e32 vcc_lo, s47, v9
	v_cndmask_b32_e64 v18, 0, -1, s0
	v_cmp_le_u32_e64 s0, s47, v12
	v_cndmask_b32_e64 v20, 0, -1, vcc_lo
	v_cmp_eq_u32_e32 vcc_lo, s47, v12
	v_cndmask_b32_e64 v19, 0, -1, s0
	v_cmp_eq_u32_e64 s0, s47, v9
	v_cndmask_b32_e32 v18, v19, v18, vcc_lo
	v_sub_co_u32 v19, vcc_lo, v11, s46
	v_subrev_co_ci_u32_e64 v8, null, 0, v8, vcc_lo
	v_cmp_ne_u32_e32 vcc_lo, 0, v18
	v_cndmask_b32_e64 v17, v20, v17, s0
	v_cndmask_b32_e32 v8, v12, v8, vcc_lo
	v_cndmask_b32_e32 v11, v11, v19, vcc_lo
	v_cmp_ne_u32_e32 vcc_lo, 0, v17
	v_cndmask_b32_e32 v3, v3, v11, vcc_lo
	v_cndmask_b32_e32 v8, v9, v8, vcc_lo
	v_xor_b32_e32 v3, v3, v13
	v_xor_b32_e32 v9, v8, v13
	v_sub_co_u32 v8, vcc_lo, v3, v13
	v_sub_co_ci_u32_e64 v9, null, v9, v13, vcc_lo
.LBB2_9:                                ;   in Loop: Header=BB2_3 Depth=1
	s_andn2_saveexec_b32 s0, s45
	s_cbranch_execz .LBB2_11
; %bb.10:                               ;   in Loop: Header=BB2_3 Depth=1
	v_cvt_f32_u32_e32 v3, s12
	s_sub_i32 s45, 0, s12
	v_mov_b32_e32 v9, v2
	v_rcp_iflag_f32_e32 v3, v3
	v_mul_f32_e32 v3, 0x4f7ffffe, v3
	v_cvt_u32_f32_e32 v3, v3
	v_mul_lo_u32 v8, s45, v3
	v_mul_hi_u32 v8, v3, v8
	v_add_nc_u32_e32 v3, v3, v8
	v_mul_hi_u32 v3, v6, v3
	v_mul_lo_u32 v3, v3, s12
	v_sub_nc_u32_e32 v3, v6, v3
	v_subrev_nc_u32_e32 v8, s12, v3
	v_cmp_le_u32_e32 vcc_lo, s12, v3
	v_cndmask_b32_e32 v3, v3, v8, vcc_lo
	v_subrev_nc_u32_e32 v8, s12, v3
	v_cmp_le_u32_e32 vcc_lo, s12, v3
	v_cndmask_b32_e32 v8, v3, v8, vcc_lo
.LBB2_11:                               ;   in Loop: Header=BB2_3 Depth=1
	s_or_b32 exec_lo, exec_lo, s0
	v_or_b32_e32 v3, s33, v15
                                        ; implicit-def: $vgpr12_vgpr13
	s_mov_b32 s0, exec_lo
	v_cmpx_ne_u64_e32 0, v[2:3]
	s_xor_b32 s45, exec_lo, s0
	s_cbranch_execz .LBB2_13
; %bb.12:                               ;   in Loop: Header=BB2_3 Depth=1
	s_ashr_i32 s46, s33, 31
	v_add_co_u32 v12, vcc_lo, v16, v10
	s_add_u32 s48, s1, s46
	s_mov_b32 s47, s46
	s_addc_u32 s49, s33, s46
	v_add_co_ci_u32_e64 v13, null, v15, v10, vcc_lo
	s_xor_b64 s[48:49], s[48:49], s[46:47]
	v_cvt_f32_u32_e32 v3, s48
	v_cvt_f32_u32_e32 v11, s49
	s_sub_u32 s56, 0, s48
	s_subb_u32 s57, 0, s49
	v_xor_b32_e32 v13, v13, v10
	v_fmac_f32_e32 v3, 0x4f800000, v11
	v_rcp_f32_e32 v3, v3
	v_mul_f32_e32 v3, 0x5f7ffffc, v3
	v_mul_f32_e32 v11, 0x2f800000, v3
	v_trunc_f32_e32 v11, v11
	v_fmac_f32_e32 v3, 0xcf800000, v11
	v_cvt_u32_f32_e32 v11, v11
	v_cvt_u32_f32_e32 v3, v3
	v_readfirstlane_b32 s0, v11
	v_readfirstlane_b32 s47, v3
	s_mul_i32 s58, s56, s0
	v_xor_b32_e32 v3, v12, v10
	v_xor_b32_e32 v10, s46, v10
	s_mul_hi_u32 s60, s56, s47
	s_mul_i32 s59, s57, s47
	s_add_i32 s58, s60, s58
	s_mul_i32 s61, s56, s47
	s_add_i32 s58, s58, s59
	s_mul_hi_u32 s60, s47, s61
	s_mul_i32 s63, s47, s58
	s_mul_hi_u32 s62, s0, s61
	s_mul_i32 s59, s0, s61
	s_mul_hi_u32 s61, s47, s58
	s_add_u32 s60, s60, s63
	s_addc_u32 s61, 0, s61
	s_mul_hi_u32 s64, s0, s58
	s_add_u32 s59, s60, s59
	s_mul_i32 s58, s0, s58
	s_addc_u32 s59, s61, s62
	s_addc_u32 s60, s64, 0
	s_add_u32 s58, s59, s58
	s_addc_u32 s59, 0, s60
	s_add_u32 s47, s47, s58
	s_cselect_b32 s58, -1, 0
	s_mul_hi_u32 s60, s56, s47
	s_cmp_lg_u32 s58, 0
	s_mul_i32 s58, s56, s47
	s_addc_u32 s0, s0, s59
	s_mul_i32 s57, s57, s47
	s_mul_i32 s56, s56, s0
	s_mul_hi_u32 s59, s47, s58
	s_add_i32 s56, s60, s56
	s_mul_hi_u32 s60, s0, s58
	s_add_i32 s56, s56, s57
	s_mul_i32 s57, s0, s58
	s_mul_i32 s62, s47, s56
	s_mul_hi_u32 s61, s47, s56
	s_add_u32 s59, s59, s62
	s_addc_u32 s61, 0, s61
	s_mul_hi_u32 s58, s0, s56
	s_add_u32 s57, s59, s57
	s_mul_i32 s56, s0, s56
	s_addc_u32 s57, s61, s60
	s_addc_u32 s58, s58, 0
	s_add_u32 s56, s57, s56
	s_addc_u32 s57, 0, s58
	s_add_u32 s47, s47, s56
	s_cselect_b32 s56, -1, 0
	v_mul_hi_u32 v21, v3, s47
	s_cmp_lg_u32 s56, 0
	v_mad_u64_u32 v[17:18], null, v13, s47, 0
	s_addc_u32 s0, s0, s57
	v_mad_u64_u32 v[11:12], null, v3, s0, 0
	v_mad_u64_u32 v[19:20], null, v13, s0, 0
	v_add_co_u32 v11, vcc_lo, v21, v11
	v_add_co_ci_u32_e64 v12, null, 0, v12, vcc_lo
	v_add_co_u32 v11, vcc_lo, v11, v17
	v_add_co_ci_u32_e32 v11, vcc_lo, v12, v18, vcc_lo
	v_add_co_ci_u32_e32 v12, vcc_lo, 0, v20, vcc_lo
	v_add_co_u32 v17, vcc_lo, v11, v19
	v_add_co_ci_u32_e64 v18, null, 0, v12, vcc_lo
	v_mul_lo_u32 v19, s49, v17
	v_mad_u64_u32 v[11:12], null, s48, v17, 0
	v_mul_lo_u32 v20, s48, v18
	v_sub_co_u32 v3, vcc_lo, v3, v11
	v_add3_u32 v12, v12, v20, v19
	v_sub_nc_u32_e32 v19, v13, v12
	v_sub_co_ci_u32_e64 v12, null, v13, v12, vcc_lo
	v_subrev_co_ci_u32_e64 v11, null, s49, v19, vcc_lo
	v_add_co_u32 v19, s0, v17, 2
	v_add_co_ci_u32_e64 v20, null, 0, v18, s0
	v_sub_co_u32 v21, s0, v3, s48
	v_subrev_co_ci_u32_e64 v11, null, 0, v11, s0
	v_cmp_le_u32_e32 vcc_lo, s48, v21
	v_cndmask_b32_e64 v13, 0, -1, vcc_lo
	v_cmp_le_u32_e32 vcc_lo, s49, v11
	v_cndmask_b32_e64 v21, 0, -1, vcc_lo
	;; [unrolled: 2-line block ×4, first 2 shown]
	v_cmp_eq_u32_e32 vcc_lo, s49, v11
	v_cndmask_b32_e32 v11, v21, v13, vcc_lo
	v_add_co_u32 v13, vcc_lo, v17, 1
	v_add_co_ci_u32_e64 v21, null, 0, v18, vcc_lo
	v_cmp_eq_u32_e32 vcc_lo, s49, v12
	v_cndmask_b32_e32 v3, v22, v3, vcc_lo
	v_cmp_ne_u32_e32 vcc_lo, 0, v11
	v_cmp_ne_u32_e64 s0, 0, v3
	v_cndmask_b32_e32 v3, v13, v19, vcc_lo
	v_cndmask_b32_e32 v11, v21, v20, vcc_lo
	v_cndmask_b32_e64 v3, v17, v3, s0
	v_cndmask_b32_e64 v11, v18, v11, s0
	v_xor_b32_e32 v3, v3, v10
	v_xor_b32_e32 v11, v11, v10
	v_sub_co_u32 v12, vcc_lo, v3, v10
	v_sub_co_ci_u32_e64 v13, null, v11, v10, vcc_lo
.LBB2_13:                               ;   in Loop: Header=BB2_3 Depth=1
	s_andn2_saveexec_b32 s0, s45
	s_cbranch_execz .LBB2_15
; %bb.14:                               ;   in Loop: Header=BB2_3 Depth=1
	v_cvt_f32_u32_e32 v3, s1
	s_sub_i32 s45, 0, s1
	v_mov_b32_e32 v13, v2
	v_rcp_iflag_f32_e32 v3, v3
	v_mul_f32_e32 v3, 0x4f7ffffe, v3
	v_cvt_u32_f32_e32 v3, v3
	v_mul_lo_u32 v10, s45, v3
	v_mul_hi_u32 v10, v3, v10
	v_add_nc_u32_e32 v3, v3, v10
	v_mul_hi_u32 v3, v5, v3
	v_mul_lo_u32 v10, v3, s1
	v_add_nc_u32_e32 v11, 1, v3
	v_sub_nc_u32_e32 v10, v5, v10
	v_subrev_nc_u32_e32 v12, s1, v10
	v_cmp_le_u32_e32 vcc_lo, s1, v10
	v_cndmask_b32_e32 v10, v10, v12, vcc_lo
	v_cndmask_b32_e32 v3, v3, v11, vcc_lo
	v_cmp_le_u32_e32 vcc_lo, s1, v10
	v_add_nc_u32_e32 v11, 1, v3
	v_cndmask_b32_e32 v12, v3, v11, vcc_lo
.LBB2_15:                               ;   in Loop: Header=BB2_3 Depth=1
	s_or_b32 exec_lo, exec_lo, s0
	v_or_b32_e32 v3, s15, v13
                                        ; implicit-def: $vgpr10_vgpr11
	s_mov_b32 s0, exec_lo
	v_cmpx_ne_u64_e32 0, v[2:3]
	s_xor_b32 s45, exec_lo, s0
	s_cbranch_execz .LBB2_17
; %bb.16:                               ;   in Loop: Header=BB2_3 Depth=1
	s_ashr_i32 s46, s15, 31
	v_ashrrev_i32_e32 v19, 31, v13
	s_add_u32 s48, s14, s46
	s_mov_b32 s47, s46
	s_addc_u32 s49, s15, s46
	s_xor_b64 s[46:47], s[48:49], s[46:47]
	v_add_co_u32 v11, vcc_lo, v12, v19
	v_cvt_f32_u32_e32 v3, s46
	v_cvt_f32_u32_e32 v10, s47
	s_sub_u32 s49, 0, s46
	s_subb_u32 s56, 0, s47
	v_add_co_ci_u32_e64 v12, null, v13, v19, vcc_lo
	v_fmac_f32_e32 v3, 0x4f800000, v10
	v_xor_b32_e32 v20, v12, v19
	v_rcp_f32_e32 v3, v3
	v_mul_f32_e32 v3, 0x5f7ffffc, v3
	v_mul_f32_e32 v10, 0x2f800000, v3
	v_trunc_f32_e32 v10, v10
	v_fmac_f32_e32 v3, 0xcf800000, v10
	v_cvt_u32_f32_e32 v10, v10
	v_cvt_u32_f32_e32 v3, v3
	v_readfirstlane_b32 s0, v10
	v_readfirstlane_b32 s48, v3
	s_mul_i32 s57, s49, s0
	v_xor_b32_e32 v3, v11, v19
	s_mul_hi_u32 s59, s49, s48
	s_mul_i32 s58, s56, s48
	s_add_i32 s57, s59, s57
	s_mul_i32 s60, s49, s48
	s_add_i32 s57, s57, s58
	s_mul_hi_u32 s59, s48, s60
	s_mul_i32 s62, s48, s57
	s_mul_hi_u32 s61, s0, s60
	s_mul_i32 s58, s0, s60
	s_mul_hi_u32 s60, s48, s57
	s_add_u32 s59, s59, s62
	s_addc_u32 s60, 0, s60
	s_mul_hi_u32 s63, s0, s57
	s_add_u32 s58, s59, s58
	s_mul_i32 s57, s0, s57
	s_addc_u32 s58, s60, s61
	s_addc_u32 s59, s63, 0
	s_add_u32 s57, s58, s57
	s_addc_u32 s58, 0, s59
	s_add_u32 s48, s48, s57
	s_cselect_b32 s57, -1, 0
	s_mul_hi_u32 s59, s49, s48
	s_cmp_lg_u32 s57, 0
	s_mul_i32 s57, s49, s48
	s_addc_u32 s0, s0, s58
	s_mul_i32 s56, s56, s48
	s_mul_i32 s49, s49, s0
	s_mul_hi_u32 s58, s48, s57
	s_add_i32 s49, s59, s49
	s_mul_hi_u32 s59, s0, s57
	s_add_i32 s49, s49, s56
	s_mul_i32 s56, s0, s57
	s_mul_i32 s61, s48, s49
	s_mul_hi_u32 s60, s48, s49
	s_add_u32 s58, s58, s61
	s_addc_u32 s60, 0, s60
	s_mul_hi_u32 s57, s0, s49
	s_add_u32 s56, s58, s56
	s_mul_i32 s49, s0, s49
	s_addc_u32 s56, s60, s59
	s_addc_u32 s57, s57, 0
	s_add_u32 s49, s56, s49
	s_addc_u32 s56, 0, s57
	s_add_u32 s48, s48, s49
	s_cselect_b32 s49, -1, 0
	v_mul_hi_u32 v21, v3, s48
	s_cmp_lg_u32 s49, 0
	v_mad_u64_u32 v[12:13], null, v20, s48, 0
	s_addc_u32 s0, s0, s56
	v_mad_u64_u32 v[10:11], null, v3, s0, 0
	v_mad_u64_u32 v[17:18], null, v20, s0, 0
	v_add_co_u32 v10, vcc_lo, v21, v10
	v_add_co_ci_u32_e64 v11, null, 0, v11, vcc_lo
	v_add_co_u32 v10, vcc_lo, v10, v12
	v_add_co_ci_u32_e32 v10, vcc_lo, v11, v13, vcc_lo
	v_add_co_ci_u32_e32 v11, vcc_lo, 0, v18, vcc_lo
	v_add_co_u32 v10, vcc_lo, v10, v17
	v_add_co_ci_u32_e64 v12, null, 0, v11, vcc_lo
	v_mul_lo_u32 v13, s47, v10
	v_mad_u64_u32 v[10:11], null, s46, v10, 0
	v_mul_lo_u32 v12, s46, v12
	v_sub_co_u32 v3, vcc_lo, v3, v10
	v_add3_u32 v11, v11, v12, v13
	v_cmp_le_u32_e64 s0, s46, v3
	v_sub_nc_u32_e32 v12, v20, v11
	v_sub_co_ci_u32_e64 v11, null, v20, v11, vcc_lo
	v_cndmask_b32_e64 v17, 0, -1, s0
	v_subrev_co_ci_u32_e64 v10, null, s47, v12, vcc_lo
	v_sub_co_u32 v12, vcc_lo, v3, s46
	v_subrev_co_ci_u32_e64 v13, null, 0, v10, vcc_lo
	v_cmp_le_u32_e64 s0, s46, v12
	v_subrev_co_ci_u32_e64 v10, null, s47, v10, vcc_lo
	v_cmp_le_u32_e32 vcc_lo, s47, v11
	v_cndmask_b32_e64 v18, 0, -1, s0
	v_cmp_le_u32_e64 s0, s47, v13
	v_cndmask_b32_e64 v21, 0, -1, vcc_lo
	v_cmp_eq_u32_e32 vcc_lo, s47, v13
	v_cndmask_b32_e64 v20, 0, -1, s0
	v_cmp_eq_u32_e64 s0, s47, v11
	v_cndmask_b32_e32 v18, v20, v18, vcc_lo
	v_sub_co_u32 v20, vcc_lo, v12, s46
	v_subrev_co_ci_u32_e64 v10, null, 0, v10, vcc_lo
	v_cmp_ne_u32_e32 vcc_lo, 0, v18
	v_cndmask_b32_e64 v17, v21, v17, s0
	v_cndmask_b32_e32 v10, v13, v10, vcc_lo
	v_cndmask_b32_e32 v12, v12, v20, vcc_lo
	v_cmp_ne_u32_e32 vcc_lo, 0, v17
	v_cndmask_b32_e32 v3, v3, v12, vcc_lo
	v_cndmask_b32_e32 v10, v11, v10, vcc_lo
                                        ; implicit-def: $vgpr12_vgpr13
	v_xor_b32_e32 v3, v3, v19
	v_xor_b32_e32 v11, v10, v19
	v_sub_co_u32 v10, vcc_lo, v3, v19
	v_sub_co_ci_u32_e64 v11, null, v11, v19, vcc_lo
.LBB2_17:                               ;   in Loop: Header=BB2_3 Depth=1
	s_andn2_saveexec_b32 s0, s45
	s_cbranch_execz .LBB2_19
; %bb.18:                               ;   in Loop: Header=BB2_3 Depth=1
	v_cvt_f32_u32_e32 v3, s14
	s_sub_i32 s45, 0, s14
	v_mov_b32_e32 v11, v2
	v_rcp_iflag_f32_e32 v3, v3
	v_mul_f32_e32 v3, 0x4f7ffffe, v3
	v_cvt_u32_f32_e32 v3, v3
	v_mul_lo_u32 v10, s45, v3
	v_mul_hi_u32 v10, v3, v10
	v_add_nc_u32_e32 v3, v3, v10
	v_mul_hi_u32 v3, v12, v3
	v_mul_lo_u32 v3, v3, s14
	v_sub_nc_u32_e32 v3, v12, v3
	v_subrev_nc_u32_e32 v10, s14, v3
	v_cmp_le_u32_e32 vcc_lo, s14, v3
	v_cndmask_b32_e32 v3, v3, v10, vcc_lo
	v_subrev_nc_u32_e32 v10, s14, v3
	v_cmp_le_u32_e32 vcc_lo, s14, v3
	v_cndmask_b32_e32 v10, v3, v10, vcc_lo
.LBB2_19:                               ;   in Loop: Header=BB2_3 Depth=1
	s_or_b32 exec_lo, exec_lo, s0
	v_mul_lo_u32 v3, v7, s8
	v_mul_lo_u32 v12, v6, s9
	v_mad_u64_u32 v[6:7], null, v6, s8, 0
	v_mul_lo_u32 v19, s27, v8
	v_mul_lo_u32 v20, s26, v9
	v_mul_lo_u32 v21, s29, v10
	v_mul_lo_u32 v22, s28, v11
	s_mov_b32 s0, 0
	s_mov_b32 s45, exec_lo
	v_add3_u32 v7, v7, v12, v3
	v_sub_co_u32 v3, vcc_lo, v16, v6
	v_sub_co_ci_u32_e64 v12, null, v15, v7, vcc_lo
	v_mul_lo_u32 v13, s25, v3
	v_mad_u64_u32 v[6:7], null, s24, v3, 0
	v_mul_lo_u32 v17, s24, v12
	v_mad_u64_u32 v[15:16], null, s26, v8, 0
	v_add3_u32 v7, v7, v17, v13
	v_mad_u64_u32 v[17:18], null, s28, v10, 0
	v_add3_u32 v16, v16, v20, v19
	v_lshlrev_b64 v[6:7], 3, v[6:7]
	v_lshlrev_b64 v[15:16], 3, v[15:16]
	v_add3_u32 v18, v18, v22, v21
	v_add_co_u32 v13, vcc_lo, s40, v6
	v_add_co_ci_u32_e64 v19, null, s41, v7, vcc_lo
	v_lshlrev_b64 v[6:7], 3, v[17:18]
	v_add_co_u32 v13, vcc_lo, v13, v15
	v_add_co_ci_u32_e64 v15, null, v19, v16, vcc_lo
	v_add_co_u32 v6, vcc_lo, v13, v6
	v_add_co_ci_u32_e64 v7, null, v15, v7, vcc_lo
	global_load_dwordx2 v[6:7], v[6:7], off
	s_waitcnt vmcnt(0)
	v_cmpx_ne_u64_e64 s[38:39], v[6:7]
	s_xor_b32 s45, exec_lo, s45
	s_cbranch_execz .LBB2_26
; %bb.20:                               ;   in Loop: Header=BB2_3 Depth=1
	v_cmp_lt_i64_e32 vcc_lo, -1, v[6:7]
	v_cmp_gt_i64_e64 s0, s[10:11], v[6:7]
	s_mov_b32 s46, 0
	s_and_b32 s47, vcc_lo, s0
	s_and_saveexec_b32 s0, s47
	s_cbranch_execz .LBB2_25
; %bb.21:                               ;   in Loop: Header=BB2_3 Depth=1
	v_mul_lo_u32 v13, s17, v3
	v_mul_lo_u32 v19, s16, v12
	v_mad_u64_u32 v[15:16], null, s16, v3, 0
	v_mul_lo_u32 v21, s19, v6
	v_mul_lo_u32 v22, s18, v7
	v_mad_u64_u32 v[17:18], null, s18, v6, 0
	v_mul_lo_u32 v23, s20, v9
	v_mul_lo_u32 v24, s23, v10
	v_add3_u32 v16, v16, v19, v13
	v_mul_lo_u32 v13, s21, v8
	v_mad_u64_u32 v[19:20], null, s20, v8, 0
	v_add3_u32 v18, v18, v22, v21
	v_lshlrev_b64 v[15:16], 1, v[15:16]
	v_mul_lo_u32 v25, s22, v11
	v_mad_u64_u32 v[21:22], null, s22, v10, 0
	v_lshlrev_b64 v[17:18], 1, v[17:18]
	v_add3_u32 v20, v20, v23, v13
	v_add_co_u32 v13, vcc_lo, s34, v15
	v_add_co_ci_u32_e64 v23, null, s35, v16, vcc_lo
	v_lshlrev_b64 v[15:16], 1, v[19:20]
	v_add3_u32 v22, v22, v25, v24
	v_add_co_u32 v13, vcc_lo, v13, v17
	v_add_co_ci_u32_e64 v19, null, v23, v18, vcc_lo
	v_lshlrev_b64 v[17:18], 1, v[21:22]
	v_add_co_u32 v13, vcc_lo, v13, v15
	v_add_co_ci_u32_e64 v16, null, v19, v16, vcc_lo
	v_add_co_u32 v15, vcc_lo, v13, v17
	v_add_co_ci_u32_e64 v16, null, v16, v18, vcc_lo
	s_andn2_b32 vcc_lo, exec_lo, s51
	global_load_ushort v13, v[15:16], off
	s_cbranch_vccnz .LBB2_23
; %bb.22:                               ;   in Loop: Header=BB2_3 Depth=1
	v_lshlrev_b64 v[6:7], 1, v[6:7]
	v_add_co_u32 v6, vcc_lo, s36, v6
	v_add_co_ci_u32_e64 v7, null, s37, v7, vcc_lo
	global_load_ushort v6, v[6:7], off
	s_branch .LBB2_24
.LBB2_23:                               ;   in Loop: Header=BB2_3 Depth=1
	v_mov_b32_e32 v6, 0x3c00
.LBB2_24:                               ;   in Loop: Header=BB2_3 Depth=1
	v_mul_lo_u32 v7, s5, v3
	v_mul_lo_u32 v12, s4, v12
	v_mad_u64_u32 v[15:16], null, s4, v3, 0
	v_mul_lo_u32 v3, s7, v8
	v_mul_lo_u32 v17, s6, v9
	;; [unrolled: 1-line block ×4, first 2 shown]
	v_mad_u64_u32 v[9:10], null, s42, v10, 0
	v_add3_u32 v16, v16, v12, v7
	v_mad_u64_u32 v[7:8], null, s6, v8, 0
	s_mov_b32 s46, exec_lo
	v_lshlrev_b64 v[11:12], 1, v[15:16]
	v_add3_u32 v10, v10, v19, v18
	v_add3_u32 v8, v8, v17, v3
	v_add_co_u32 v3, vcc_lo, s30, v11
	v_add_co_ci_u32_e64 v11, null, s31, v12, vcc_lo
	v_lshlrev_b64 v[7:8], 1, v[7:8]
	v_lshlrev_b64 v[9:10], 1, v[9:10]
	v_add_co_u32 v3, vcc_lo, v3, v7
	v_add_co_ci_u32_e64 v7, null, v11, v8, vcc_lo
	s_waitcnt vmcnt(0)
	v_mul_f16_e64 v8, v6, -v13
	v_add_co_u32 v6, vcc_lo, v3, v9
	v_add_co_ci_u32_e64 v7, null, v7, v10, vcc_lo
	global_store_short v[6:7], v8, off
.LBB2_25:                               ;   in Loop: Header=BB2_3 Depth=1
	s_or_b32 exec_lo, exec_lo, s0
	s_and_b32 s0, s46, exec_lo
                                        ; implicit-def: $vgpr3
                                        ; implicit-def: $vgpr12
                                        ; implicit-def: $vgpr8_vgpr9
                                        ; implicit-def: $vgpr10_vgpr11
.LBB2_26:                               ;   in Loop: Header=BB2_3 Depth=1
	s_andn2_saveexec_b32 s45, s45
	s_cbranch_execz .LBB2_28
; %bb.27:                               ;   in Loop: Header=BB2_3 Depth=1
	v_mul_lo_u32 v13, s5, v3
	v_mul_lo_u32 v12, s4, v12
	v_mad_u64_u32 v[6:7], null, s4, v3, 0
	v_mul_lo_u32 v3, s7, v8
	v_mul_lo_u32 v15, s6, v9
	v_mad_u64_u32 v[8:9], null, s6, v8, 0
	s_or_b32 s0, s0, exec_lo
	v_add3_u32 v7, v7, v12, v13
	v_mul_lo_u32 v12, s43, v10
	v_mul_lo_u32 v13, s42, v11
	v_mad_u64_u32 v[10:11], null, s42, v10, 0
	v_add3_u32 v9, v9, v15, v3
	v_lshlrev_b64 v[6:7], 1, v[6:7]
	v_lshlrev_b64 v[8:9], 1, v[8:9]
	v_add3_u32 v11, v11, v13, v12
	v_add_co_u32 v3, vcc_lo, s30, v6
	v_add_co_ci_u32_e64 v12, null, s31, v7, vcc_lo
	v_lshlrev_b64 v[6:7], 1, v[10:11]
	v_add_co_u32 v3, vcc_lo, v3, v8
	v_add_co_ci_u32_e64 v8, null, v12, v9, vcc_lo
	v_add_co_u32 v6, vcc_lo, v3, v6
	v_add_co_ci_u32_e64 v7, null, v8, v7, vcc_lo
	global_store_short v[6:7], v2, off
.LBB2_28:                               ;   in Loop: Header=BB2_3 Depth=1
	s_or_b32 exec_lo, exec_lo, s45
	s_mov_b32 s46, -1
	s_or_b32 s55, s55, exec_lo
	s_and_saveexec_b32 s45, s0
	s_cbranch_execz .LBB2_2
; %bb.29:                               ;   in Loop: Header=BB2_3 Depth=1
	v_add_co_u32 v0, vcc_lo, v0, s50
	v_add_co_ci_u32_e64 v1, null, 0, v1, vcc_lo
	v_add_co_u32 v4, s0, v4, 0
	v_add_co_ci_u32_e64 v5, null, s53, v5, s0
	v_cmp_le_i64_e32 vcc_lo, s[2:3], v[0:1]
	s_andn2_b32 s55, s55, exec_lo
	s_orn2_b32 s46, vcc_lo, exec_lo
	s_branch .LBB2_2
.LBB2_30:
	s_or_b32 exec_lo, exec_lo, s52
	s_and_saveexec_b32 s0, s54
	s_xor_b32 s0, exec_lo, s0
	s_cbranch_execnz .LBB2_32
.LBB2_31:
	s_endpgm
.LBB2_32:
	s_trap 2
	; divergent unreachable
	s_endpgm
	.section	.rodata,"a",@progbits
	.p2align	6, 0x0
	.amdhsa_kernel _ZN2at6native12_GLOBAL__N_135nll_loss2d_forward_no_reduce_kernelIN3c104HalfEEEvlN5torch10headeronly6detail27GenericPackedTensorAccessorINS7_14TensorAccessorINS3_8ArrayRefIlEET_Lm3ENS6_16DefaultPtrTraitsElEENS_6detail16IndexBoundsCheckILm4ElEESC_Lm4ESD_lEENS8_INS9_ISB_lLm2ESD_lEENSG_ILm3ElEElLm3ESD_lEENS8_INS9_ISB_SC_Lm2ESD_lEESK_SC_Lm3ESD_lEEPKSC_l
		.amdhsa_group_segment_fixed_size 0
		.amdhsa_private_segment_fixed_size 0
		.amdhsa_kernarg_size 464
		.amdhsa_user_sgpr_count 6
		.amdhsa_user_sgpr_private_segment_buffer 1
		.amdhsa_user_sgpr_dispatch_ptr 0
		.amdhsa_user_sgpr_queue_ptr 0
		.amdhsa_user_sgpr_kernarg_segment_ptr 1
		.amdhsa_user_sgpr_dispatch_id 0
		.amdhsa_user_sgpr_flat_scratch_init 0
		.amdhsa_user_sgpr_private_segment_size 0
		.amdhsa_wavefront_size32 1
		.amdhsa_uses_dynamic_stack 0
		.amdhsa_system_sgpr_private_segment_wavefront_offset 0
		.amdhsa_system_sgpr_workgroup_id_x 1
		.amdhsa_system_sgpr_workgroup_id_y 0
		.amdhsa_system_sgpr_workgroup_id_z 0
		.amdhsa_system_sgpr_workgroup_info 0
		.amdhsa_system_vgpr_workitem_id 0
		.amdhsa_next_free_vgpr 26
		.amdhsa_next_free_sgpr 65
		.amdhsa_reserve_vcc 1
		.amdhsa_reserve_flat_scratch 0
		.amdhsa_float_round_mode_32 0
		.amdhsa_float_round_mode_16_64 0
		.amdhsa_float_denorm_mode_32 3
		.amdhsa_float_denorm_mode_16_64 3
		.amdhsa_dx10_clamp 1
		.amdhsa_ieee_mode 1
		.amdhsa_fp16_overflow 0
		.amdhsa_workgroup_processor_mode 1
		.amdhsa_memory_ordered 1
		.amdhsa_forward_progress 1
		.amdhsa_shared_vgpr_count 0
		.amdhsa_exception_fp_ieee_invalid_op 0
		.amdhsa_exception_fp_denorm_src 0
		.amdhsa_exception_fp_ieee_div_zero 0
		.amdhsa_exception_fp_ieee_overflow 0
		.amdhsa_exception_fp_ieee_underflow 0
		.amdhsa_exception_fp_ieee_inexact 0
		.amdhsa_exception_int_div_zero 0
	.end_amdhsa_kernel
	.section	.text._ZN2at6native12_GLOBAL__N_135nll_loss2d_forward_no_reduce_kernelIN3c104HalfEEEvlN5torch10headeronly6detail27GenericPackedTensorAccessorINS7_14TensorAccessorINS3_8ArrayRefIlEET_Lm3ENS6_16DefaultPtrTraitsElEENS_6detail16IndexBoundsCheckILm4ElEESC_Lm4ESD_lEENS8_INS9_ISB_lLm2ESD_lEENSG_ILm3ElEElLm3ESD_lEENS8_INS9_ISB_SC_Lm2ESD_lEESK_SC_Lm3ESD_lEEPKSC_l,"axG",@progbits,_ZN2at6native12_GLOBAL__N_135nll_loss2d_forward_no_reduce_kernelIN3c104HalfEEEvlN5torch10headeronly6detail27GenericPackedTensorAccessorINS7_14TensorAccessorINS3_8ArrayRefIlEET_Lm3ENS6_16DefaultPtrTraitsElEENS_6detail16IndexBoundsCheckILm4ElEESC_Lm4ESD_lEENS8_INS9_ISB_lLm2ESD_lEENSG_ILm3ElEElLm3ESD_lEENS8_INS9_ISB_SC_Lm2ESD_lEESK_SC_Lm3ESD_lEEPKSC_l,comdat
.Lfunc_end2:
	.size	_ZN2at6native12_GLOBAL__N_135nll_loss2d_forward_no_reduce_kernelIN3c104HalfEEEvlN5torch10headeronly6detail27GenericPackedTensorAccessorINS7_14TensorAccessorINS3_8ArrayRefIlEET_Lm3ENS6_16DefaultPtrTraitsElEENS_6detail16IndexBoundsCheckILm4ElEESC_Lm4ESD_lEENS8_INS9_ISB_lLm2ESD_lEENSG_ILm3ElEElLm3ESD_lEENS8_INS9_ISB_SC_Lm2ESD_lEESK_SC_Lm3ESD_lEEPKSC_l, .Lfunc_end2-_ZN2at6native12_GLOBAL__N_135nll_loss2d_forward_no_reduce_kernelIN3c104HalfEEEvlN5torch10headeronly6detail27GenericPackedTensorAccessorINS7_14TensorAccessorINS3_8ArrayRefIlEET_Lm3ENS6_16DefaultPtrTraitsElEENS_6detail16IndexBoundsCheckILm4ElEESC_Lm4ESD_lEENS8_INS9_ISB_lLm2ESD_lEENSG_ILm3ElEElLm3ESD_lEENS8_INS9_ISB_SC_Lm2ESD_lEESK_SC_Lm3ESD_lEEPKSC_l
                                        ; -- End function
	.set _ZN2at6native12_GLOBAL__N_135nll_loss2d_forward_no_reduce_kernelIN3c104HalfEEEvlN5torch10headeronly6detail27GenericPackedTensorAccessorINS7_14TensorAccessorINS3_8ArrayRefIlEET_Lm3ENS6_16DefaultPtrTraitsElEENS_6detail16IndexBoundsCheckILm4ElEESC_Lm4ESD_lEENS8_INS9_ISB_lLm2ESD_lEENSG_ILm3ElEElLm3ESD_lEENS8_INS9_ISB_SC_Lm2ESD_lEESK_SC_Lm3ESD_lEEPKSC_l.num_vgpr, 26
	.set _ZN2at6native12_GLOBAL__N_135nll_loss2d_forward_no_reduce_kernelIN3c104HalfEEEvlN5torch10headeronly6detail27GenericPackedTensorAccessorINS7_14TensorAccessorINS3_8ArrayRefIlEET_Lm3ENS6_16DefaultPtrTraitsElEENS_6detail16IndexBoundsCheckILm4ElEESC_Lm4ESD_lEENS8_INS9_ISB_lLm2ESD_lEENSG_ILm3ElEElLm3ESD_lEENS8_INS9_ISB_SC_Lm2ESD_lEESK_SC_Lm3ESD_lEEPKSC_l.num_agpr, 0
	.set _ZN2at6native12_GLOBAL__N_135nll_loss2d_forward_no_reduce_kernelIN3c104HalfEEEvlN5torch10headeronly6detail27GenericPackedTensorAccessorINS7_14TensorAccessorINS3_8ArrayRefIlEET_Lm3ENS6_16DefaultPtrTraitsElEENS_6detail16IndexBoundsCheckILm4ElEESC_Lm4ESD_lEENS8_INS9_ISB_lLm2ESD_lEENSG_ILm3ElEElLm3ESD_lEENS8_INS9_ISB_SC_Lm2ESD_lEESK_SC_Lm3ESD_lEEPKSC_l.numbered_sgpr, 65
	.set _ZN2at6native12_GLOBAL__N_135nll_loss2d_forward_no_reduce_kernelIN3c104HalfEEEvlN5torch10headeronly6detail27GenericPackedTensorAccessorINS7_14TensorAccessorINS3_8ArrayRefIlEET_Lm3ENS6_16DefaultPtrTraitsElEENS_6detail16IndexBoundsCheckILm4ElEESC_Lm4ESD_lEENS8_INS9_ISB_lLm2ESD_lEENSG_ILm3ElEElLm3ESD_lEENS8_INS9_ISB_SC_Lm2ESD_lEESK_SC_Lm3ESD_lEEPKSC_l.num_named_barrier, 0
	.set _ZN2at6native12_GLOBAL__N_135nll_loss2d_forward_no_reduce_kernelIN3c104HalfEEEvlN5torch10headeronly6detail27GenericPackedTensorAccessorINS7_14TensorAccessorINS3_8ArrayRefIlEET_Lm3ENS6_16DefaultPtrTraitsElEENS_6detail16IndexBoundsCheckILm4ElEESC_Lm4ESD_lEENS8_INS9_ISB_lLm2ESD_lEENSG_ILm3ElEElLm3ESD_lEENS8_INS9_ISB_SC_Lm2ESD_lEESK_SC_Lm3ESD_lEEPKSC_l.private_seg_size, 0
	.set _ZN2at6native12_GLOBAL__N_135nll_loss2d_forward_no_reduce_kernelIN3c104HalfEEEvlN5torch10headeronly6detail27GenericPackedTensorAccessorINS7_14TensorAccessorINS3_8ArrayRefIlEET_Lm3ENS6_16DefaultPtrTraitsElEENS_6detail16IndexBoundsCheckILm4ElEESC_Lm4ESD_lEENS8_INS9_ISB_lLm2ESD_lEENSG_ILm3ElEElLm3ESD_lEENS8_INS9_ISB_SC_Lm2ESD_lEESK_SC_Lm3ESD_lEEPKSC_l.uses_vcc, 1
	.set _ZN2at6native12_GLOBAL__N_135nll_loss2d_forward_no_reduce_kernelIN3c104HalfEEEvlN5torch10headeronly6detail27GenericPackedTensorAccessorINS7_14TensorAccessorINS3_8ArrayRefIlEET_Lm3ENS6_16DefaultPtrTraitsElEENS_6detail16IndexBoundsCheckILm4ElEESC_Lm4ESD_lEENS8_INS9_ISB_lLm2ESD_lEENSG_ILm3ElEElLm3ESD_lEENS8_INS9_ISB_SC_Lm2ESD_lEESK_SC_Lm3ESD_lEEPKSC_l.uses_flat_scratch, 0
	.set _ZN2at6native12_GLOBAL__N_135nll_loss2d_forward_no_reduce_kernelIN3c104HalfEEEvlN5torch10headeronly6detail27GenericPackedTensorAccessorINS7_14TensorAccessorINS3_8ArrayRefIlEET_Lm3ENS6_16DefaultPtrTraitsElEENS_6detail16IndexBoundsCheckILm4ElEESC_Lm4ESD_lEENS8_INS9_ISB_lLm2ESD_lEENSG_ILm3ElEElLm3ESD_lEENS8_INS9_ISB_SC_Lm2ESD_lEESK_SC_Lm3ESD_lEEPKSC_l.has_dyn_sized_stack, 0
	.set _ZN2at6native12_GLOBAL__N_135nll_loss2d_forward_no_reduce_kernelIN3c104HalfEEEvlN5torch10headeronly6detail27GenericPackedTensorAccessorINS7_14TensorAccessorINS3_8ArrayRefIlEET_Lm3ENS6_16DefaultPtrTraitsElEENS_6detail16IndexBoundsCheckILm4ElEESC_Lm4ESD_lEENS8_INS9_ISB_lLm2ESD_lEENSG_ILm3ElEElLm3ESD_lEENS8_INS9_ISB_SC_Lm2ESD_lEESK_SC_Lm3ESD_lEEPKSC_l.has_recursion, 0
	.set _ZN2at6native12_GLOBAL__N_135nll_loss2d_forward_no_reduce_kernelIN3c104HalfEEEvlN5torch10headeronly6detail27GenericPackedTensorAccessorINS7_14TensorAccessorINS3_8ArrayRefIlEET_Lm3ENS6_16DefaultPtrTraitsElEENS_6detail16IndexBoundsCheckILm4ElEESC_Lm4ESD_lEENS8_INS9_ISB_lLm2ESD_lEENSG_ILm3ElEElLm3ESD_lEENS8_INS9_ISB_SC_Lm2ESD_lEESK_SC_Lm3ESD_lEEPKSC_l.has_indirect_call, 0
	.section	.AMDGPU.csdata,"",@progbits
; Kernel info:
; codeLenInByte = 4320
; TotalNumSgprs: 67
; NumVgprs: 26
; ScratchSize: 0
; MemoryBound: 0
; FloatMode: 240
; IeeeMode: 1
; LDSByteSize: 0 bytes/workgroup (compile time only)
; SGPRBlocks: 0
; VGPRBlocks: 3
; NumSGPRsForWavesPerEU: 67
; NumVGPRsForWavesPerEU: 26
; Occupancy: 16
; WaveLimiterHint : 1
; COMPUTE_PGM_RSRC2:SCRATCH_EN: 0
; COMPUTE_PGM_RSRC2:USER_SGPR: 6
; COMPUTE_PGM_RSRC2:TRAP_HANDLER: 0
; COMPUTE_PGM_RSRC2:TGID_X_EN: 1
; COMPUTE_PGM_RSRC2:TGID_Y_EN: 0
; COMPUTE_PGM_RSRC2:TGID_Z_EN: 0
; COMPUTE_PGM_RSRC2:TIDIG_COMP_CNT: 0
	.section	.text._ZN2at6native12_GLOBAL__N_135nll_loss2d_forward_no_reduce_kernelIN3c108BFloat16EEEvlN5torch10headeronly6detail27GenericPackedTensorAccessorINS7_14TensorAccessorINS3_8ArrayRefIlEET_Lm3ENS6_16DefaultPtrTraitsElEENS_6detail16IndexBoundsCheckILm4ElEESC_Lm4ESD_lEENS8_INS9_ISB_lLm2ESD_lEENSG_ILm3ElEElLm3ESD_lEENS8_INS9_ISB_SC_Lm2ESD_lEESK_SC_Lm3ESD_lEEPKSC_l,"axG",@progbits,_ZN2at6native12_GLOBAL__N_135nll_loss2d_forward_no_reduce_kernelIN3c108BFloat16EEEvlN5torch10headeronly6detail27GenericPackedTensorAccessorINS7_14TensorAccessorINS3_8ArrayRefIlEET_Lm3ENS6_16DefaultPtrTraitsElEENS_6detail16IndexBoundsCheckILm4ElEESC_Lm4ESD_lEENS8_INS9_ISB_lLm2ESD_lEENSG_ILm3ElEElLm3ESD_lEENS8_INS9_ISB_SC_Lm2ESD_lEESK_SC_Lm3ESD_lEEPKSC_l,comdat
	.globl	_ZN2at6native12_GLOBAL__N_135nll_loss2d_forward_no_reduce_kernelIN3c108BFloat16EEEvlN5torch10headeronly6detail27GenericPackedTensorAccessorINS7_14TensorAccessorINS3_8ArrayRefIlEET_Lm3ENS6_16DefaultPtrTraitsElEENS_6detail16IndexBoundsCheckILm4ElEESC_Lm4ESD_lEENS8_INS9_ISB_lLm2ESD_lEENSG_ILm3ElEElLm3ESD_lEENS8_INS9_ISB_SC_Lm2ESD_lEESK_SC_Lm3ESD_lEEPKSC_l ; -- Begin function _ZN2at6native12_GLOBAL__N_135nll_loss2d_forward_no_reduce_kernelIN3c108BFloat16EEEvlN5torch10headeronly6detail27GenericPackedTensorAccessorINS7_14TensorAccessorINS3_8ArrayRefIlEET_Lm3ENS6_16DefaultPtrTraitsElEENS_6detail16IndexBoundsCheckILm4ElEESC_Lm4ESD_lEENS8_INS9_ISB_lLm2ESD_lEENSG_ILm3ElEElLm3ESD_lEENS8_INS9_ISB_SC_Lm2ESD_lEESK_SC_Lm3ESD_lEEPKSC_l
	.p2align	8
	.type	_ZN2at6native12_GLOBAL__N_135nll_loss2d_forward_no_reduce_kernelIN3c108BFloat16EEEvlN5torch10headeronly6detail27GenericPackedTensorAccessorINS7_14TensorAccessorINS3_8ArrayRefIlEET_Lm3ENS6_16DefaultPtrTraitsElEENS_6detail16IndexBoundsCheckILm4ElEESC_Lm4ESD_lEENS8_INS9_ISB_lLm2ESD_lEENSG_ILm3ElEElLm3ESD_lEENS8_INS9_ISB_SC_Lm2ESD_lEESK_SC_Lm3ESD_lEEPKSC_l,@function
_ZN2at6native12_GLOBAL__N_135nll_loss2d_forward_no_reduce_kernelIN3c108BFloat16EEEvlN5torch10headeronly6detail27GenericPackedTensorAccessorINS7_14TensorAccessorINS3_8ArrayRefIlEET_Lm3ENS6_16DefaultPtrTraitsElEENS_6detail16IndexBoundsCheckILm4ElEESC_Lm4ESD_lEENS8_INS9_ISB_lLm2ESD_lEENSG_ILm3ElEElLm3ESD_lEENS8_INS9_ISB_SC_Lm2ESD_lEESK_SC_Lm3ESD_lEEPKSC_l: ; @_ZN2at6native12_GLOBAL__N_135nll_loss2d_forward_no_reduce_kernelIN3c108BFloat16EEEvlN5torch10headeronly6detail27GenericPackedTensorAccessorINS7_14TensorAccessorINS3_8ArrayRefIlEET_Lm3ENS6_16DefaultPtrTraitsElEENS_6detail16IndexBoundsCheckILm4ElEESC_Lm4ESD_lEENS8_INS9_ISB_lLm2ESD_lEENSG_ILm3ElEElLm3ESD_lEENS8_INS9_ISB_SC_Lm2ESD_lEESK_SC_Lm3ESD_lEEPKSC_l
; %bb.0:
	s_clause 0x1
	s_load_dword s7, s[4:5], 0xdc
	s_load_dwordx2 s[2:3], s[4:5], 0x0
	v_mov_b32_e32 v2, 0
	s_add_u32 s0, s4, 0xd0
	s_addc_u32 s1, s5, 0
	v_mov_b32_e32 v1, v2
	s_waitcnt lgkmcnt(0)
	s_and_b32 s44, s7, 0xffff
	v_mad_u64_u32 v[0:1], null, s44, s6, v[0:1]
	s_mov_b32 s6, exec_lo
	v_cmpx_gt_i64_e64 s[2:3], v[0:1]
	s_cbranch_execz .LBB3_29
; %bb.1:
	s_clause 0x1
	s_load_dwordx8 s[8:15], s[4:5], 0x10
	s_load_dwordx4 s[36:39], s[4:5], 0xc0
	s_load_dword s0, s[0:1], 0x0
	s_clause 0x5
	s_load_dwordx2 s[34:35], s[4:5], 0x8
	s_load_dwordx8 s[16:23], s[4:5], 0x30
	s_load_dwordx2 s[40:41], s[4:5], 0x50
	s_load_dwordx8 s[24:31], s[4:5], 0x70
	s_load_dwordx2 s[42:43], s[4:5], 0xb8
	s_load_dwordx4 s[4:7], s[4:5], 0xa8
	v_mov_b32_e32 v14, 0x7fc0
	s_mov_b32 s52, 0
                                        ; implicit-def: $sgpr54
                                        ; implicit-def: $sgpr55
	s_waitcnt lgkmcnt(0)
	v_cvt_f32_u32_e32 v3, s8
	s_mul_i32 s33, s12, s9
	s_mul_hi_u32 s45, s12, s8
	s_mul_i32 s46, s13, s8
	s_add_i32 s33, s45, s33
	v_rcp_iflag_f32_e32 v4, v3
	v_mov_b32_e32 v3, v0
	s_add_i32 s33, s33, s46
	s_cmp_lg_u64 s[36:37], 0
	s_mul_i32 s50, s0, s44
	s_mul_i32 s1, s12, s8
	s_cselect_b32 s51, -1, 0
	s_mov_b32 s53, s50
	s_ashr_i32 s44, s9, 31
	v_mul_f32_e32 v4, 0x4f7ffffe, v4
	v_cvt_u32_f32_e32 v15, v4
	v_mov_b32_e32 v5, v3
	v_mov_b32_e32 v4, v2
	s_branch .LBB3_3
.LBB3_2:                                ;   in Loop: Header=BB3_3 Depth=1
	s_or_b32 exec_lo, exec_lo, s46
	s_and_b32 s0, exec_lo, s45
	s_or_b32 s52, s0, s52
	s_andn2_b32 s0, s54, exec_lo
	s_and_b32 s45, s55, exec_lo
	s_or_b32 s54, s0, s45
	s_andn2_b32 exec_lo, exec_lo, s52
	s_cbranch_execz .LBB3_28
.LBB3_3:                                ; =>This Inner Loop Header: Depth=1
	v_ashrrev_i32_e32 v16, 31, v5
	v_mov_b32_e32 v17, v5
                                        ; implicit-def: $vgpr6_vgpr7
	s_mov_b32 s0, exec_lo
	v_or_b32_e32 v3, s9, v16
	v_ashrrev_i32_e32 v10, 31, v16
	v_cmpx_ne_u64_e32 0, v[2:3]
	s_xor_b32 s48, exec_lo, s0
	s_cbranch_execz .LBB3_5
; %bb.4:                                ;   in Loop: Header=BB3_3 Depth=1
	s_add_u32 s46, s8, s44
	s_mov_b32 s45, s44
	s_addc_u32 s47, s9, s44
	v_add_co_u32 v7, vcc_lo, v17, v10
	s_xor_b64 s[46:47], s[46:47], s[44:45]
	v_add_co_ci_u32_e64 v8, null, v16, v10, vcc_lo
	v_cvt_f32_u32_e32 v3, s46
	v_cvt_f32_u32_e32 v6, s47
	s_sub_u32 s49, 0, s46
	s_subb_u32 s56, 0, s47
	v_xor_b32_e32 v13, v8, v10
	v_fmac_f32_e32 v3, 0x4f800000, v6
	v_rcp_f32_e32 v3, v3
	v_mul_f32_e32 v3, 0x5f7ffffc, v3
	v_mul_f32_e32 v6, 0x2f800000, v3
	v_trunc_f32_e32 v6, v6
	v_fmac_f32_e32 v3, 0xcf800000, v6
	v_cvt_u32_f32_e32 v6, v6
	v_cvt_u32_f32_e32 v3, v3
	v_readfirstlane_b32 s0, v6
	v_readfirstlane_b32 s45, v3
	s_mul_i32 s57, s49, s0
	v_xor_b32_e32 v3, v7, v10
	s_mul_hi_u32 s59, s49, s45
	s_mul_i32 s58, s56, s45
	s_add_i32 s57, s59, s57
	s_mul_i32 s60, s49, s45
	s_add_i32 s57, s57, s58
	s_mul_hi_u32 s59, s45, s60
	s_mul_i32 s62, s45, s57
	s_mul_hi_u32 s61, s0, s60
	s_mul_i32 s58, s0, s60
	s_mul_hi_u32 s60, s45, s57
	s_add_u32 s59, s59, s62
	s_addc_u32 s60, 0, s60
	s_mul_hi_u32 s63, s0, s57
	s_add_u32 s58, s59, s58
	s_mul_i32 s57, s0, s57
	s_addc_u32 s58, s60, s61
	s_addc_u32 s59, s63, 0
	s_add_u32 s57, s58, s57
	s_addc_u32 s58, 0, s59
	s_add_u32 s45, s45, s57
	s_cselect_b32 s57, -1, 0
	s_mul_hi_u32 s59, s49, s45
	s_cmp_lg_u32 s57, 0
	s_mul_i32 s57, s49, s45
	s_addc_u32 s0, s0, s58
	s_mul_i32 s56, s56, s45
	s_mul_i32 s49, s49, s0
	s_mul_hi_u32 s58, s45, s57
	s_add_i32 s49, s59, s49
	s_mul_hi_u32 s59, s0, s57
	s_add_i32 s49, s49, s56
	s_mul_i32 s56, s0, s57
	s_mul_i32 s61, s45, s49
	s_mul_hi_u32 s60, s45, s49
	s_add_u32 s58, s58, s61
	s_addc_u32 s60, 0, s60
	s_mul_hi_u32 s57, s0, s49
	s_add_u32 s56, s58, s56
	s_mul_i32 s49, s0, s49
	s_addc_u32 s56, s60, s59
	s_addc_u32 s57, s57, 0
	s_add_u32 s49, s56, s49
	s_addc_u32 s56, 0, s57
	s_add_u32 s45, s45, s49
	s_cselect_b32 s49, -1, 0
	v_mul_hi_u32 v18, v3, s45
	s_cmp_lg_u32 s49, 0
	v_mad_u64_u32 v[8:9], null, v13, s45, 0
	s_addc_u32 s0, s0, s56
	v_mad_u64_u32 v[6:7], null, v3, s0, 0
	v_mad_u64_u32 v[11:12], null, v13, s0, 0
	v_add_co_u32 v6, vcc_lo, v18, v6
	v_add_co_ci_u32_e64 v7, null, 0, v7, vcc_lo
	v_add_co_u32 v6, vcc_lo, v6, v8
	v_add_co_ci_u32_e32 v6, vcc_lo, v7, v9, vcc_lo
	v_add_co_ci_u32_e32 v7, vcc_lo, 0, v12, vcc_lo
	v_add_co_u32 v8, vcc_lo, v6, v11
	v_add_co_ci_u32_e64 v9, null, 0, v7, vcc_lo
	v_mul_lo_u32 v11, s47, v8
	v_mad_u64_u32 v[6:7], null, s46, v8, 0
	v_mul_lo_u32 v12, s46, v9
	v_sub_co_u32 v3, vcc_lo, v3, v6
	v_add3_u32 v7, v7, v12, v11
	v_sub_nc_u32_e32 v11, v13, v7
	v_sub_co_ci_u32_e64 v7, null, v13, v7, vcc_lo
	v_subrev_co_ci_u32_e64 v6, null, s47, v11, vcc_lo
	v_add_co_u32 v11, s0, v8, 2
	v_add_co_ci_u32_e64 v12, null, 0, v9, s0
	v_sub_co_u32 v18, s0, v3, s46
	v_subrev_co_ci_u32_e64 v6, null, 0, v6, s0
	v_cmp_le_u32_e32 vcc_lo, s46, v18
	v_cndmask_b32_e64 v13, 0, -1, vcc_lo
	v_cmp_le_u32_e32 vcc_lo, s47, v6
	v_cndmask_b32_e64 v18, 0, -1, vcc_lo
	;; [unrolled: 2-line block ×4, first 2 shown]
	v_cmp_eq_u32_e32 vcc_lo, s47, v6
	v_cndmask_b32_e32 v6, v18, v13, vcc_lo
	v_add_co_u32 v13, vcc_lo, v8, 1
	v_add_co_ci_u32_e64 v18, null, 0, v9, vcc_lo
	v_cmp_eq_u32_e32 vcc_lo, s47, v7
	v_xor_b32_e32 v7, s44, v10
	v_cndmask_b32_e32 v3, v19, v3, vcc_lo
	v_cmp_ne_u32_e32 vcc_lo, 0, v6
	v_cmp_ne_u32_e64 s0, 0, v3
	v_cndmask_b32_e32 v3, v13, v11, vcc_lo
	v_cndmask_b32_e32 v6, v18, v12, vcc_lo
	v_cndmask_b32_e64 v3, v8, v3, s0
	v_cndmask_b32_e64 v6, v9, v6, s0
	v_xor_b32_e32 v3, v3, v7
	v_xor_b32_e32 v8, v6, v7
	v_sub_co_u32 v6, vcc_lo, v3, v7
	v_sub_co_ci_u32_e64 v7, null, v8, v7, vcc_lo
.LBB3_5:                                ;   in Loop: Header=BB3_3 Depth=1
	s_andn2_saveexec_b32 s0, s48
	s_cbranch_execz .LBB3_7
; %bb.6:                                ;   in Loop: Header=BB3_3 Depth=1
	s_sub_i32 s45, 0, s8
	v_mul_lo_u32 v3, s45, v15
	v_mul_hi_u32 v3, v15, v3
	v_add_nc_u32_e32 v3, v15, v3
	v_mul_hi_u32 v3, v17, v3
	v_mul_lo_u32 v6, v3, s8
	v_add_nc_u32_e32 v7, 1, v3
	v_sub_nc_u32_e32 v6, v17, v6
	v_subrev_nc_u32_e32 v8, s8, v6
	v_cmp_le_u32_e32 vcc_lo, s8, v6
	v_cndmask_b32_e32 v6, v6, v8, vcc_lo
	v_cndmask_b32_e32 v3, v3, v7, vcc_lo
	v_cmp_le_u32_e32 vcc_lo, s8, v6
	v_add_nc_u32_e32 v7, 1, v3
	v_cndmask_b32_e32 v6, v3, v7, vcc_lo
	v_mov_b32_e32 v7, v2
.LBB3_7:                                ;   in Loop: Header=BB3_3 Depth=1
	s_or_b32 exec_lo, exec_lo, s0
	v_or_b32_e32 v3, s13, v7
                                        ; implicit-def: $vgpr8_vgpr9
	s_mov_b32 s0, exec_lo
	v_cmpx_ne_u64_e32 0, v[2:3]
	s_xor_b32 s45, exec_lo, s0
	s_cbranch_execz .LBB3_9
; %bb.8:                                ;   in Loop: Header=BB3_3 Depth=1
	s_ashr_i32 s46, s13, 31
	v_ashrrev_i32_e32 v13, 31, v7
	s_add_u32 s48, s12, s46
	s_mov_b32 s47, s46
	s_addc_u32 s49, s13, s46
	s_xor_b64 s[46:47], s[48:49], s[46:47]
	v_add_co_u32 v9, vcc_lo, v6, v13
	v_cvt_f32_u32_e32 v3, s46
	v_cvt_f32_u32_e32 v8, s47
	s_sub_u32 s49, 0, s46
	s_subb_u32 s56, 0, s47
	v_add_co_ci_u32_e64 v11, null, v7, v13, vcc_lo
	v_fmac_f32_e32 v3, 0x4f800000, v8
	v_xor_b32_e32 v20, v11, v13
	v_rcp_f32_e32 v3, v3
	v_mul_f32_e32 v3, 0x5f7ffffc, v3
	v_mul_f32_e32 v8, 0x2f800000, v3
	v_trunc_f32_e32 v8, v8
	v_fmac_f32_e32 v3, 0xcf800000, v8
	v_cvt_u32_f32_e32 v8, v8
	v_cvt_u32_f32_e32 v3, v3
	v_readfirstlane_b32 s0, v8
	v_readfirstlane_b32 s48, v3
	s_mul_i32 s57, s49, s0
	v_xor_b32_e32 v3, v9, v13
	s_mul_hi_u32 s59, s49, s48
	s_mul_i32 s58, s56, s48
	s_add_i32 s57, s59, s57
	s_mul_i32 s60, s49, s48
	s_add_i32 s57, s57, s58
	s_mul_hi_u32 s59, s48, s60
	s_mul_i32 s62, s48, s57
	s_mul_hi_u32 s61, s0, s60
	s_mul_i32 s58, s0, s60
	s_mul_hi_u32 s60, s48, s57
	s_add_u32 s59, s59, s62
	s_addc_u32 s60, 0, s60
	s_mul_hi_u32 s63, s0, s57
	s_add_u32 s58, s59, s58
	s_mul_i32 s57, s0, s57
	s_addc_u32 s58, s60, s61
	s_addc_u32 s59, s63, 0
	s_add_u32 s57, s58, s57
	s_addc_u32 s58, 0, s59
	s_add_u32 s48, s48, s57
	s_cselect_b32 s57, -1, 0
	s_mul_hi_u32 s59, s49, s48
	s_cmp_lg_u32 s57, 0
	s_mul_i32 s57, s49, s48
	s_addc_u32 s0, s0, s58
	s_mul_i32 s56, s56, s48
	s_mul_i32 s49, s49, s0
	s_mul_hi_u32 s58, s48, s57
	s_add_i32 s49, s59, s49
	s_mul_hi_u32 s59, s0, s57
	s_add_i32 s49, s49, s56
	s_mul_i32 s56, s0, s57
	s_mul_i32 s61, s48, s49
	s_mul_hi_u32 s60, s48, s49
	s_add_u32 s58, s58, s61
	s_addc_u32 s60, 0, s60
	s_mul_hi_u32 s57, s0, s49
	s_add_u32 s56, s58, s56
	s_mul_i32 s49, s0, s49
	s_addc_u32 s56, s60, s59
	s_addc_u32 s57, s57, 0
	s_add_u32 s49, s56, s49
	s_addc_u32 s56, 0, s57
	s_add_u32 s48, s48, s49
	s_cselect_b32 s49, -1, 0
	v_mul_hi_u32 v21, v3, s48
	s_cmp_lg_u32 s49, 0
	v_mad_u64_u32 v[11:12], null, v20, s48, 0
	s_addc_u32 s0, s0, s56
	v_mad_u64_u32 v[8:9], null, v3, s0, 0
	v_mad_u64_u32 v[18:19], null, v20, s0, 0
	v_add_co_u32 v8, vcc_lo, v21, v8
	v_add_co_ci_u32_e64 v9, null, 0, v9, vcc_lo
	v_add_co_u32 v8, vcc_lo, v8, v11
	v_add_co_ci_u32_e32 v8, vcc_lo, v9, v12, vcc_lo
	v_add_co_ci_u32_e32 v9, vcc_lo, 0, v19, vcc_lo
	v_add_co_u32 v8, vcc_lo, v8, v18
	v_add_co_ci_u32_e64 v11, null, 0, v9, vcc_lo
	v_mul_lo_u32 v12, s47, v8
	v_mad_u64_u32 v[8:9], null, s46, v8, 0
	v_mul_lo_u32 v11, s46, v11
	v_sub_co_u32 v3, vcc_lo, v3, v8
	v_add3_u32 v9, v9, v11, v12
	v_cmp_le_u32_e64 s0, s46, v3
	v_sub_nc_u32_e32 v11, v20, v9
	v_sub_co_ci_u32_e64 v9, null, v20, v9, vcc_lo
	v_cndmask_b32_e64 v18, 0, -1, s0
	v_subrev_co_ci_u32_e64 v8, null, s47, v11, vcc_lo
	v_sub_co_u32 v11, vcc_lo, v3, s46
	v_subrev_co_ci_u32_e64 v12, null, 0, v8, vcc_lo
	v_cmp_le_u32_e64 s0, s46, v11
	v_subrev_co_ci_u32_e64 v8, null, s47, v8, vcc_lo
	v_cmp_le_u32_e32 vcc_lo, s47, v9
	v_cndmask_b32_e64 v19, 0, -1, s0
	v_cmp_le_u32_e64 s0, s47, v12
	v_cndmask_b32_e64 v21, 0, -1, vcc_lo
	v_cmp_eq_u32_e32 vcc_lo, s47, v12
	v_cndmask_b32_e64 v20, 0, -1, s0
	v_cmp_eq_u32_e64 s0, s47, v9
	v_cndmask_b32_e32 v19, v20, v19, vcc_lo
	v_sub_co_u32 v20, vcc_lo, v11, s46
	v_subrev_co_ci_u32_e64 v8, null, 0, v8, vcc_lo
	v_cmp_ne_u32_e32 vcc_lo, 0, v19
	v_cndmask_b32_e64 v18, v21, v18, s0
	v_cndmask_b32_e32 v8, v12, v8, vcc_lo
	v_cndmask_b32_e32 v11, v11, v20, vcc_lo
	v_cmp_ne_u32_e32 vcc_lo, 0, v18
	v_cndmask_b32_e32 v3, v3, v11, vcc_lo
	v_cndmask_b32_e32 v8, v9, v8, vcc_lo
	v_xor_b32_e32 v3, v3, v13
	v_xor_b32_e32 v9, v8, v13
	v_sub_co_u32 v8, vcc_lo, v3, v13
	v_sub_co_ci_u32_e64 v9, null, v9, v13, vcc_lo
.LBB3_9:                                ;   in Loop: Header=BB3_3 Depth=1
	s_andn2_saveexec_b32 s0, s45
	s_cbranch_execz .LBB3_11
; %bb.10:                               ;   in Loop: Header=BB3_3 Depth=1
	v_cvt_f32_u32_e32 v3, s12
	s_sub_i32 s45, 0, s12
	v_mov_b32_e32 v9, v2
	v_rcp_iflag_f32_e32 v3, v3
	v_mul_f32_e32 v3, 0x4f7ffffe, v3
	v_cvt_u32_f32_e32 v3, v3
	v_mul_lo_u32 v8, s45, v3
	v_mul_hi_u32 v8, v3, v8
	v_add_nc_u32_e32 v3, v3, v8
	v_mul_hi_u32 v3, v6, v3
	v_mul_lo_u32 v3, v3, s12
	v_sub_nc_u32_e32 v3, v6, v3
	v_subrev_nc_u32_e32 v8, s12, v3
	v_cmp_le_u32_e32 vcc_lo, s12, v3
	v_cndmask_b32_e32 v3, v3, v8, vcc_lo
	v_subrev_nc_u32_e32 v8, s12, v3
	v_cmp_le_u32_e32 vcc_lo, s12, v3
	v_cndmask_b32_e32 v8, v3, v8, vcc_lo
.LBB3_11:                               ;   in Loop: Header=BB3_3 Depth=1
	s_or_b32 exec_lo, exec_lo, s0
	v_or_b32_e32 v3, s33, v16
                                        ; implicit-def: $vgpr12_vgpr13
	s_mov_b32 s0, exec_lo
	v_cmpx_ne_u64_e32 0, v[2:3]
	s_xor_b32 s45, exec_lo, s0
	s_cbranch_execz .LBB3_13
; %bb.12:                               ;   in Loop: Header=BB3_3 Depth=1
	s_ashr_i32 s46, s33, 31
	v_add_co_u32 v12, vcc_lo, v17, v10
	s_add_u32 s48, s1, s46
	s_mov_b32 s47, s46
	s_addc_u32 s49, s33, s46
	v_add_co_ci_u32_e64 v13, null, v16, v10, vcc_lo
	s_xor_b64 s[48:49], s[48:49], s[46:47]
	v_cvt_f32_u32_e32 v3, s48
	v_cvt_f32_u32_e32 v11, s49
	s_sub_u32 s56, 0, s48
	s_subb_u32 s57, 0, s49
	v_xor_b32_e32 v13, v13, v10
	v_fmac_f32_e32 v3, 0x4f800000, v11
	v_rcp_f32_e32 v3, v3
	v_mul_f32_e32 v3, 0x5f7ffffc, v3
	v_mul_f32_e32 v11, 0x2f800000, v3
	v_trunc_f32_e32 v11, v11
	v_fmac_f32_e32 v3, 0xcf800000, v11
	v_cvt_u32_f32_e32 v11, v11
	v_cvt_u32_f32_e32 v3, v3
	v_readfirstlane_b32 s0, v11
	v_readfirstlane_b32 s47, v3
	s_mul_i32 s58, s56, s0
	v_xor_b32_e32 v3, v12, v10
	v_xor_b32_e32 v10, s46, v10
	s_mul_hi_u32 s60, s56, s47
	s_mul_i32 s59, s57, s47
	s_add_i32 s58, s60, s58
	s_mul_i32 s61, s56, s47
	s_add_i32 s58, s58, s59
	s_mul_hi_u32 s60, s47, s61
	s_mul_i32 s63, s47, s58
	s_mul_hi_u32 s62, s0, s61
	s_mul_i32 s59, s0, s61
	s_mul_hi_u32 s61, s47, s58
	s_add_u32 s60, s60, s63
	s_addc_u32 s61, 0, s61
	s_mul_hi_u32 s64, s0, s58
	s_add_u32 s59, s60, s59
	s_mul_i32 s58, s0, s58
	s_addc_u32 s59, s61, s62
	s_addc_u32 s60, s64, 0
	s_add_u32 s58, s59, s58
	s_addc_u32 s59, 0, s60
	s_add_u32 s47, s47, s58
	s_cselect_b32 s58, -1, 0
	s_mul_hi_u32 s60, s56, s47
	s_cmp_lg_u32 s58, 0
	s_mul_i32 s58, s56, s47
	s_addc_u32 s0, s0, s59
	s_mul_i32 s57, s57, s47
	s_mul_i32 s56, s56, s0
	s_mul_hi_u32 s59, s47, s58
	s_add_i32 s56, s60, s56
	s_mul_hi_u32 s60, s0, s58
	s_add_i32 s56, s56, s57
	s_mul_i32 s57, s0, s58
	s_mul_i32 s62, s47, s56
	s_mul_hi_u32 s61, s47, s56
	s_add_u32 s59, s59, s62
	s_addc_u32 s61, 0, s61
	s_mul_hi_u32 s58, s0, s56
	s_add_u32 s57, s59, s57
	s_mul_i32 s56, s0, s56
	s_addc_u32 s57, s61, s60
	s_addc_u32 s58, s58, 0
	s_add_u32 s56, s57, s56
	s_addc_u32 s57, 0, s58
	s_add_u32 s47, s47, s56
	s_cselect_b32 s56, -1, 0
	v_mul_hi_u32 v22, v3, s47
	s_cmp_lg_u32 s56, 0
	v_mad_u64_u32 v[18:19], null, v13, s47, 0
	s_addc_u32 s0, s0, s57
	v_mad_u64_u32 v[11:12], null, v3, s0, 0
	v_mad_u64_u32 v[20:21], null, v13, s0, 0
	v_add_co_u32 v11, vcc_lo, v22, v11
	v_add_co_ci_u32_e64 v12, null, 0, v12, vcc_lo
	v_add_co_u32 v11, vcc_lo, v11, v18
	v_add_co_ci_u32_e32 v11, vcc_lo, v12, v19, vcc_lo
	v_add_co_ci_u32_e32 v12, vcc_lo, 0, v21, vcc_lo
	v_add_co_u32 v18, vcc_lo, v11, v20
	v_add_co_ci_u32_e64 v19, null, 0, v12, vcc_lo
	v_mul_lo_u32 v20, s49, v18
	v_mad_u64_u32 v[11:12], null, s48, v18, 0
	v_mul_lo_u32 v21, s48, v19
	v_sub_co_u32 v3, vcc_lo, v3, v11
	v_add3_u32 v12, v12, v21, v20
	v_sub_nc_u32_e32 v20, v13, v12
	v_sub_co_ci_u32_e64 v12, null, v13, v12, vcc_lo
	v_subrev_co_ci_u32_e64 v11, null, s49, v20, vcc_lo
	v_add_co_u32 v20, s0, v18, 2
	v_add_co_ci_u32_e64 v21, null, 0, v19, s0
	v_sub_co_u32 v22, s0, v3, s48
	v_subrev_co_ci_u32_e64 v11, null, 0, v11, s0
	v_cmp_le_u32_e32 vcc_lo, s48, v22
	v_cndmask_b32_e64 v13, 0, -1, vcc_lo
	v_cmp_le_u32_e32 vcc_lo, s49, v11
	v_cndmask_b32_e64 v22, 0, -1, vcc_lo
	v_cmp_le_u32_e32 vcc_lo, s48, v3
	v_cndmask_b32_e64 v3, 0, -1, vcc_lo
	v_cmp_le_u32_e32 vcc_lo, s49, v12
	v_cndmask_b32_e64 v23, 0, -1, vcc_lo
	v_cmp_eq_u32_e32 vcc_lo, s49, v11
	v_cndmask_b32_e32 v11, v22, v13, vcc_lo
	v_add_co_u32 v13, vcc_lo, v18, 1
	v_add_co_ci_u32_e64 v22, null, 0, v19, vcc_lo
	v_cmp_eq_u32_e32 vcc_lo, s49, v12
	v_cndmask_b32_e32 v3, v23, v3, vcc_lo
	v_cmp_ne_u32_e32 vcc_lo, 0, v11
	v_cmp_ne_u32_e64 s0, 0, v3
	v_cndmask_b32_e32 v3, v13, v20, vcc_lo
	v_cndmask_b32_e32 v11, v22, v21, vcc_lo
	v_cndmask_b32_e64 v3, v18, v3, s0
	v_cndmask_b32_e64 v11, v19, v11, s0
	v_xor_b32_e32 v3, v3, v10
	v_xor_b32_e32 v11, v11, v10
	v_sub_co_u32 v12, vcc_lo, v3, v10
	v_sub_co_ci_u32_e64 v13, null, v11, v10, vcc_lo
.LBB3_13:                               ;   in Loop: Header=BB3_3 Depth=1
	s_andn2_saveexec_b32 s0, s45
	s_cbranch_execz .LBB3_15
; %bb.14:                               ;   in Loop: Header=BB3_3 Depth=1
	v_cvt_f32_u32_e32 v3, s1
	s_sub_i32 s45, 0, s1
	v_mov_b32_e32 v13, v2
	v_rcp_iflag_f32_e32 v3, v3
	v_mul_f32_e32 v3, 0x4f7ffffe, v3
	v_cvt_u32_f32_e32 v3, v3
	v_mul_lo_u32 v10, s45, v3
	v_mul_hi_u32 v10, v3, v10
	v_add_nc_u32_e32 v3, v3, v10
	v_mul_hi_u32 v3, v5, v3
	v_mul_lo_u32 v10, v3, s1
	v_add_nc_u32_e32 v11, 1, v3
	v_sub_nc_u32_e32 v10, v5, v10
	v_subrev_nc_u32_e32 v12, s1, v10
	v_cmp_le_u32_e32 vcc_lo, s1, v10
	v_cndmask_b32_e32 v10, v10, v12, vcc_lo
	v_cndmask_b32_e32 v3, v3, v11, vcc_lo
	v_cmp_le_u32_e32 vcc_lo, s1, v10
	v_add_nc_u32_e32 v11, 1, v3
	v_cndmask_b32_e32 v12, v3, v11, vcc_lo
.LBB3_15:                               ;   in Loop: Header=BB3_3 Depth=1
	s_or_b32 exec_lo, exec_lo, s0
	v_or_b32_e32 v3, s15, v13
                                        ; implicit-def: $vgpr10_vgpr11
	s_mov_b32 s0, exec_lo
	v_cmpx_ne_u64_e32 0, v[2:3]
	s_xor_b32 s45, exec_lo, s0
	s_cbranch_execz .LBB3_17
; %bb.16:                               ;   in Loop: Header=BB3_3 Depth=1
	s_ashr_i32 s46, s15, 31
	v_ashrrev_i32_e32 v20, 31, v13
	s_add_u32 s48, s14, s46
	s_mov_b32 s47, s46
	s_addc_u32 s49, s15, s46
	s_xor_b64 s[46:47], s[48:49], s[46:47]
	v_add_co_u32 v11, vcc_lo, v12, v20
	v_cvt_f32_u32_e32 v3, s46
	v_cvt_f32_u32_e32 v10, s47
	s_sub_u32 s49, 0, s46
	s_subb_u32 s56, 0, s47
	v_add_co_ci_u32_e64 v12, null, v13, v20, vcc_lo
	v_fmac_f32_e32 v3, 0x4f800000, v10
	v_xor_b32_e32 v21, v12, v20
	v_rcp_f32_e32 v3, v3
	v_mul_f32_e32 v3, 0x5f7ffffc, v3
	v_mul_f32_e32 v10, 0x2f800000, v3
	v_trunc_f32_e32 v10, v10
	v_fmac_f32_e32 v3, 0xcf800000, v10
	v_cvt_u32_f32_e32 v10, v10
	v_cvt_u32_f32_e32 v3, v3
	v_readfirstlane_b32 s0, v10
	v_readfirstlane_b32 s48, v3
	s_mul_i32 s57, s49, s0
	v_xor_b32_e32 v3, v11, v20
	s_mul_hi_u32 s59, s49, s48
	s_mul_i32 s58, s56, s48
	s_add_i32 s57, s59, s57
	s_mul_i32 s60, s49, s48
	s_add_i32 s57, s57, s58
	s_mul_hi_u32 s59, s48, s60
	s_mul_i32 s62, s48, s57
	s_mul_hi_u32 s61, s0, s60
	s_mul_i32 s58, s0, s60
	s_mul_hi_u32 s60, s48, s57
	s_add_u32 s59, s59, s62
	s_addc_u32 s60, 0, s60
	s_mul_hi_u32 s63, s0, s57
	s_add_u32 s58, s59, s58
	s_mul_i32 s57, s0, s57
	s_addc_u32 s58, s60, s61
	s_addc_u32 s59, s63, 0
	s_add_u32 s57, s58, s57
	s_addc_u32 s58, 0, s59
	s_add_u32 s48, s48, s57
	s_cselect_b32 s57, -1, 0
	s_mul_hi_u32 s59, s49, s48
	s_cmp_lg_u32 s57, 0
	s_mul_i32 s57, s49, s48
	s_addc_u32 s0, s0, s58
	s_mul_i32 s56, s56, s48
	s_mul_i32 s49, s49, s0
	s_mul_hi_u32 s58, s48, s57
	s_add_i32 s49, s59, s49
	s_mul_hi_u32 s59, s0, s57
	s_add_i32 s49, s49, s56
	s_mul_i32 s56, s0, s57
	s_mul_i32 s61, s48, s49
	s_mul_hi_u32 s60, s48, s49
	s_add_u32 s58, s58, s61
	s_addc_u32 s60, 0, s60
	s_mul_hi_u32 s57, s0, s49
	s_add_u32 s56, s58, s56
	s_mul_i32 s49, s0, s49
	s_addc_u32 s56, s60, s59
	s_addc_u32 s57, s57, 0
	s_add_u32 s49, s56, s49
	s_addc_u32 s56, 0, s57
	s_add_u32 s48, s48, s49
	s_cselect_b32 s49, -1, 0
	v_mul_hi_u32 v22, v3, s48
	s_cmp_lg_u32 s49, 0
	v_mad_u64_u32 v[12:13], null, v21, s48, 0
	s_addc_u32 s0, s0, s56
	v_mad_u64_u32 v[10:11], null, v3, s0, 0
	v_mad_u64_u32 v[18:19], null, v21, s0, 0
	v_add_co_u32 v10, vcc_lo, v22, v10
	v_add_co_ci_u32_e64 v11, null, 0, v11, vcc_lo
	v_add_co_u32 v10, vcc_lo, v10, v12
	v_add_co_ci_u32_e32 v10, vcc_lo, v11, v13, vcc_lo
	v_add_co_ci_u32_e32 v11, vcc_lo, 0, v19, vcc_lo
	v_add_co_u32 v10, vcc_lo, v10, v18
	v_add_co_ci_u32_e64 v12, null, 0, v11, vcc_lo
	v_mul_lo_u32 v13, s47, v10
	v_mad_u64_u32 v[10:11], null, s46, v10, 0
	v_mul_lo_u32 v12, s46, v12
	v_sub_co_u32 v3, vcc_lo, v3, v10
	v_add3_u32 v11, v11, v12, v13
	v_cmp_le_u32_e64 s0, s46, v3
	v_sub_nc_u32_e32 v12, v21, v11
	v_sub_co_ci_u32_e64 v11, null, v21, v11, vcc_lo
	v_cndmask_b32_e64 v18, 0, -1, s0
	v_subrev_co_ci_u32_e64 v10, null, s47, v12, vcc_lo
	v_sub_co_u32 v12, vcc_lo, v3, s46
	v_subrev_co_ci_u32_e64 v13, null, 0, v10, vcc_lo
	v_cmp_le_u32_e64 s0, s46, v12
	v_subrev_co_ci_u32_e64 v10, null, s47, v10, vcc_lo
	v_cmp_le_u32_e32 vcc_lo, s47, v11
	v_cndmask_b32_e64 v19, 0, -1, s0
	v_cmp_le_u32_e64 s0, s47, v13
	v_cndmask_b32_e64 v22, 0, -1, vcc_lo
	v_cmp_eq_u32_e32 vcc_lo, s47, v13
	v_cndmask_b32_e64 v21, 0, -1, s0
	v_cmp_eq_u32_e64 s0, s47, v11
	v_cndmask_b32_e32 v19, v21, v19, vcc_lo
	v_sub_co_u32 v21, vcc_lo, v12, s46
	v_subrev_co_ci_u32_e64 v10, null, 0, v10, vcc_lo
	v_cmp_ne_u32_e32 vcc_lo, 0, v19
	v_cndmask_b32_e64 v18, v22, v18, s0
	v_cndmask_b32_e32 v10, v13, v10, vcc_lo
	v_cndmask_b32_e32 v12, v12, v21, vcc_lo
	v_cmp_ne_u32_e32 vcc_lo, 0, v18
	v_cndmask_b32_e32 v3, v3, v12, vcc_lo
	v_cndmask_b32_e32 v10, v11, v10, vcc_lo
                                        ; implicit-def: $vgpr12_vgpr13
	v_xor_b32_e32 v3, v3, v20
	v_xor_b32_e32 v11, v10, v20
	v_sub_co_u32 v10, vcc_lo, v3, v20
	v_sub_co_ci_u32_e64 v11, null, v11, v20, vcc_lo
.LBB3_17:                               ;   in Loop: Header=BB3_3 Depth=1
	s_andn2_saveexec_b32 s0, s45
	s_cbranch_execz .LBB3_19
; %bb.18:                               ;   in Loop: Header=BB3_3 Depth=1
	v_cvt_f32_u32_e32 v3, s14
	s_sub_i32 s45, 0, s14
	v_mov_b32_e32 v11, v2
	v_rcp_iflag_f32_e32 v3, v3
	v_mul_f32_e32 v3, 0x4f7ffffe, v3
	v_cvt_u32_f32_e32 v3, v3
	v_mul_lo_u32 v10, s45, v3
	v_mul_hi_u32 v10, v3, v10
	v_add_nc_u32_e32 v3, v3, v10
	v_mul_hi_u32 v3, v12, v3
	v_mul_lo_u32 v3, v3, s14
	v_sub_nc_u32_e32 v3, v12, v3
	v_subrev_nc_u32_e32 v10, s14, v3
	v_cmp_le_u32_e32 vcc_lo, s14, v3
	v_cndmask_b32_e32 v3, v3, v10, vcc_lo
	v_subrev_nc_u32_e32 v10, s14, v3
	v_cmp_le_u32_e32 vcc_lo, s14, v3
	v_cndmask_b32_e32 v10, v3, v10, vcc_lo
.LBB3_19:                               ;   in Loop: Header=BB3_3 Depth=1
	s_or_b32 exec_lo, exec_lo, s0
	v_mul_lo_u32 v3, v7, s8
	v_mul_lo_u32 v12, v6, s9
	v_mad_u64_u32 v[6:7], null, v6, s8, 0
	v_mul_lo_u32 v20, s27, v8
	v_mul_lo_u32 v21, s26, v9
	;; [unrolled: 1-line block ×4, first 2 shown]
	s_mov_b32 s45, -1
	s_mov_b32 s0, -1
	v_add3_u32 v7, v7, v12, v3
	v_sub_co_u32 v3, vcc_lo, v17, v6
	s_mov_b32 s46, exec_lo
	v_sub_co_ci_u32_e64 v12, null, v16, v7, vcc_lo
	v_mul_lo_u32 v13, s25, v3
	v_mad_u64_u32 v[6:7], null, s24, v3, 0
	v_mul_lo_u32 v18, s24, v12
	v_mad_u64_u32 v[16:17], null, s26, v8, 0
	v_add3_u32 v7, v7, v18, v13
	v_mad_u64_u32 v[18:19], null, s28, v10, 0
	v_add3_u32 v17, v17, v21, v20
	v_lshlrev_b64 v[6:7], 3, v[6:7]
	v_lshlrev_b64 v[16:17], 3, v[16:17]
	v_add3_u32 v19, v19, v23, v22
	v_add_co_u32 v13, vcc_lo, s40, v6
	v_add_co_ci_u32_e64 v20, null, s41, v7, vcc_lo
	v_lshlrev_b64 v[6:7], 3, v[18:19]
	v_add_co_u32 v13, vcc_lo, v13, v16
	v_add_co_ci_u32_e64 v16, null, v20, v17, vcc_lo
	v_add_co_u32 v6, vcc_lo, v13, v6
	v_add_co_ci_u32_e64 v7, null, v16, v7, vcc_lo
	v_mov_b32_e32 v13, 0
	global_load_dwordx2 v[6:7], v[6:7], off
	s_waitcnt vmcnt(0)
	v_cmpx_ne_u64_e64 s[38:39], v[6:7]
	s_cbranch_execz .LBB3_26
; %bb.20:                               ;   in Loop: Header=BB3_3 Depth=1
	v_cmp_lt_i64_e32 vcc_lo, -1, v[6:7]
	v_cmp_gt_i64_e64 s0, s[10:11], v[6:7]
	v_mov_b32_e32 v13, 0
	s_mov_b32 s47, 0
	s_and_b32 s48, vcc_lo, s0
	s_and_saveexec_b32 s0, s48
	s_cbranch_execz .LBB3_25
; %bb.21:                               ;   in Loop: Header=BB3_3 Depth=1
	v_mul_lo_u32 v13, s17, v3
	v_mul_lo_u32 v20, s16, v12
	v_mad_u64_u32 v[16:17], null, s16, v3, 0
	v_mul_lo_u32 v22, s19, v6
	v_mul_lo_u32 v23, s18, v7
	v_mad_u64_u32 v[18:19], null, s18, v6, 0
	v_mul_lo_u32 v24, s20, v9
	v_mul_lo_u32 v25, s23, v10
	v_add3_u32 v17, v17, v20, v13
	v_mul_lo_u32 v13, s21, v8
	v_mad_u64_u32 v[20:21], null, s20, v8, 0
	v_add3_u32 v19, v19, v23, v22
	v_lshlrev_b64 v[16:17], 1, v[16:17]
	v_mul_lo_u32 v26, s22, v11
	v_mad_u64_u32 v[22:23], null, s22, v10, 0
	v_lshlrev_b64 v[18:19], 1, v[18:19]
	v_add3_u32 v21, v21, v24, v13
	v_add_co_u32 v13, vcc_lo, s34, v16
	v_add_co_ci_u32_e64 v24, null, s35, v17, vcc_lo
	v_lshlrev_b64 v[16:17], 1, v[20:21]
	v_add3_u32 v23, v23, v26, v25
	v_add_co_u32 v13, vcc_lo, v13, v18
	v_add_co_ci_u32_e64 v20, null, v24, v19, vcc_lo
	v_lshlrev_b64 v[18:19], 1, v[22:23]
	v_add_co_u32 v13, vcc_lo, v13, v16
	v_add_co_ci_u32_e64 v17, null, v20, v17, vcc_lo
	v_add_co_u32 v16, vcc_lo, v13, v18
	v_add_co_ci_u32_e64 v17, null, v17, v19, vcc_lo
	s_andn2_b32 vcc_lo, exec_lo, s51
	global_load_ushort v13, v[16:17], off
	s_cbranch_vccnz .LBB3_23
; %bb.22:                               ;   in Loop: Header=BB3_3 Depth=1
	v_lshlrev_b64 v[6:7], 1, v[6:7]
	v_add_co_u32 v6, vcc_lo, s36, v6
	v_add_co_ci_u32_e64 v7, null, s37, v7, vcc_lo
	global_load_ushort v6, v[6:7], off
	s_waitcnt vmcnt(0)
	v_lshlrev_b32_e32 v6, 16, v6
	s_branch .LBB3_24
.LBB3_23:                               ;   in Loop: Header=BB3_3 Depth=1
	v_mov_b32_e32 v6, 1.0
.LBB3_24:                               ;   in Loop: Header=BB3_3 Depth=1
	s_waitcnt vmcnt(0)
	v_lshlrev_b32_e32 v7, 16, v13
	s_mov_b32 s47, exec_lo
	v_xor_b32_e32 v13, 0x80000000, v7
	v_cmp_o_f32_e32 vcc_lo, v7, v7
	v_bfe_u32 v16, v13, 16, 1
	v_add3_u32 v13, v13, v16, 0x7fff
	v_and_b32_e32 v13, 0xffff0000, v13
	v_cndmask_b32_e32 v7, 0x7fc00000, v13, vcc_lo
	v_mul_f32_e32 v6, v7, v6
	v_bfe_u32 v7, v6, 16, 1
	v_cmp_o_f32_e32 vcc_lo, v6, v6
	v_add3_u32 v6, v6, v7, 0x7fff
	v_cndmask_b32_sdwa v13, v14, v6, vcc_lo dst_sel:DWORD dst_unused:UNUSED_PAD src0_sel:DWORD src1_sel:WORD_1
.LBB3_25:                               ;   in Loop: Header=BB3_3 Depth=1
	s_or_b32 exec_lo, exec_lo, s0
	s_orn2_b32 s0, s47, exec_lo
.LBB3_26:                               ;   in Loop: Header=BB3_3 Depth=1
	s_or_b32 exec_lo, exec_lo, s46
	s_or_b32 s55, s55, exec_lo
	s_and_saveexec_b32 s46, s0
	s_cbranch_execz .LBB3_2
; %bb.27:                               ;   in Loop: Header=BB3_3 Depth=1
	v_mul_lo_u32 v16, s5, v3
	v_mul_lo_u32 v12, s4, v12
	v_mad_u64_u32 v[6:7], null, s4, v3, 0
	v_mul_lo_u32 v3, s7, v8
	v_mul_lo_u32 v17, s6, v9
	v_mad_u64_u32 v[8:9], null, s6, v8, 0
	v_add_co_u32 v4, s0, v4, 0
	v_add3_u32 v7, v7, v12, v16
	v_mul_lo_u32 v12, s43, v10
	v_mul_lo_u32 v16, s42, v11
	v_mad_u64_u32 v[10:11], null, s42, v10, 0
	v_add3_u32 v9, v9, v17, v3
	v_lshlrev_b64 v[6:7], 1, v[6:7]
	v_add_co_ci_u32_e64 v5, null, s53, v5, s0
	s_andn2_b32 s55, s55, exec_lo
	v_lshlrev_b64 v[8:9], 1, v[8:9]
	v_add3_u32 v11, v11, v16, v12
	v_add_co_u32 v3, vcc_lo, s30, v6
	v_add_co_ci_u32_e64 v6, null, s31, v7, vcc_lo
	v_add_co_u32 v3, vcc_lo, v3, v8
	v_add_co_ci_u32_e64 v8, null, v6, v9, vcc_lo
	v_lshlrev_b64 v[6:7], 1, v[10:11]
	v_add_co_u32 v0, vcc_lo, v0, s50
	v_add_co_ci_u32_e64 v1, null, 0, v1, vcc_lo
	v_add_co_u32 v6, vcc_lo, v3, v6
	v_add_co_ci_u32_e64 v7, null, v8, v7, vcc_lo
	v_cmp_le_i64_e32 vcc_lo, s[2:3], v[0:1]
	global_store_short v[6:7], v13, off
	s_orn2_b32 s45, vcc_lo, exec_lo
	s_branch .LBB3_2
.LBB3_28:
	s_or_b32 exec_lo, exec_lo, s52
	s_and_saveexec_b32 s0, s54
	s_xor_b32 s0, exec_lo, s0
	s_cbranch_execnz .LBB3_30
.LBB3_29:
	s_endpgm
.LBB3_30:
	s_trap 2
	; divergent unreachable
	s_endpgm
	.section	.rodata,"a",@progbits
	.p2align	6, 0x0
	.amdhsa_kernel _ZN2at6native12_GLOBAL__N_135nll_loss2d_forward_no_reduce_kernelIN3c108BFloat16EEEvlN5torch10headeronly6detail27GenericPackedTensorAccessorINS7_14TensorAccessorINS3_8ArrayRefIlEET_Lm3ENS6_16DefaultPtrTraitsElEENS_6detail16IndexBoundsCheckILm4ElEESC_Lm4ESD_lEENS8_INS9_ISB_lLm2ESD_lEENSG_ILm3ElEElLm3ESD_lEENS8_INS9_ISB_SC_Lm2ESD_lEESK_SC_Lm3ESD_lEEPKSC_l
		.amdhsa_group_segment_fixed_size 0
		.amdhsa_private_segment_fixed_size 0
		.amdhsa_kernarg_size 464
		.amdhsa_user_sgpr_count 6
		.amdhsa_user_sgpr_private_segment_buffer 1
		.amdhsa_user_sgpr_dispatch_ptr 0
		.amdhsa_user_sgpr_queue_ptr 0
		.amdhsa_user_sgpr_kernarg_segment_ptr 1
		.amdhsa_user_sgpr_dispatch_id 0
		.amdhsa_user_sgpr_flat_scratch_init 0
		.amdhsa_user_sgpr_private_segment_size 0
		.amdhsa_wavefront_size32 1
		.amdhsa_uses_dynamic_stack 0
		.amdhsa_system_sgpr_private_segment_wavefront_offset 0
		.amdhsa_system_sgpr_workgroup_id_x 1
		.amdhsa_system_sgpr_workgroup_id_y 0
		.amdhsa_system_sgpr_workgroup_id_z 0
		.amdhsa_system_sgpr_workgroup_info 0
		.amdhsa_system_vgpr_workitem_id 0
		.amdhsa_next_free_vgpr 27
		.amdhsa_next_free_sgpr 65
		.amdhsa_reserve_vcc 1
		.amdhsa_reserve_flat_scratch 0
		.amdhsa_float_round_mode_32 0
		.amdhsa_float_round_mode_16_64 0
		.amdhsa_float_denorm_mode_32 3
		.amdhsa_float_denorm_mode_16_64 3
		.amdhsa_dx10_clamp 1
		.amdhsa_ieee_mode 1
		.amdhsa_fp16_overflow 0
		.amdhsa_workgroup_processor_mode 1
		.amdhsa_memory_ordered 1
		.amdhsa_forward_progress 1
		.amdhsa_shared_vgpr_count 0
		.amdhsa_exception_fp_ieee_invalid_op 0
		.amdhsa_exception_fp_denorm_src 0
		.amdhsa_exception_fp_ieee_div_zero 0
		.amdhsa_exception_fp_ieee_overflow 0
		.amdhsa_exception_fp_ieee_underflow 0
		.amdhsa_exception_fp_ieee_inexact 0
		.amdhsa_exception_int_div_zero 0
	.end_amdhsa_kernel
	.section	.text._ZN2at6native12_GLOBAL__N_135nll_loss2d_forward_no_reduce_kernelIN3c108BFloat16EEEvlN5torch10headeronly6detail27GenericPackedTensorAccessorINS7_14TensorAccessorINS3_8ArrayRefIlEET_Lm3ENS6_16DefaultPtrTraitsElEENS_6detail16IndexBoundsCheckILm4ElEESC_Lm4ESD_lEENS8_INS9_ISB_lLm2ESD_lEENSG_ILm3ElEElLm3ESD_lEENS8_INS9_ISB_SC_Lm2ESD_lEESK_SC_Lm3ESD_lEEPKSC_l,"axG",@progbits,_ZN2at6native12_GLOBAL__N_135nll_loss2d_forward_no_reduce_kernelIN3c108BFloat16EEEvlN5torch10headeronly6detail27GenericPackedTensorAccessorINS7_14TensorAccessorINS3_8ArrayRefIlEET_Lm3ENS6_16DefaultPtrTraitsElEENS_6detail16IndexBoundsCheckILm4ElEESC_Lm4ESD_lEENS8_INS9_ISB_lLm2ESD_lEENSG_ILm3ElEElLm3ESD_lEENS8_INS9_ISB_SC_Lm2ESD_lEESK_SC_Lm3ESD_lEEPKSC_l,comdat
.Lfunc_end3:
	.size	_ZN2at6native12_GLOBAL__N_135nll_loss2d_forward_no_reduce_kernelIN3c108BFloat16EEEvlN5torch10headeronly6detail27GenericPackedTensorAccessorINS7_14TensorAccessorINS3_8ArrayRefIlEET_Lm3ENS6_16DefaultPtrTraitsElEENS_6detail16IndexBoundsCheckILm4ElEESC_Lm4ESD_lEENS8_INS9_ISB_lLm2ESD_lEENSG_ILm3ElEElLm3ESD_lEENS8_INS9_ISB_SC_Lm2ESD_lEESK_SC_Lm3ESD_lEEPKSC_l, .Lfunc_end3-_ZN2at6native12_GLOBAL__N_135nll_loss2d_forward_no_reduce_kernelIN3c108BFloat16EEEvlN5torch10headeronly6detail27GenericPackedTensorAccessorINS7_14TensorAccessorINS3_8ArrayRefIlEET_Lm3ENS6_16DefaultPtrTraitsElEENS_6detail16IndexBoundsCheckILm4ElEESC_Lm4ESD_lEENS8_INS9_ISB_lLm2ESD_lEENSG_ILm3ElEElLm3ESD_lEENS8_INS9_ISB_SC_Lm2ESD_lEESK_SC_Lm3ESD_lEEPKSC_l
                                        ; -- End function
	.set _ZN2at6native12_GLOBAL__N_135nll_loss2d_forward_no_reduce_kernelIN3c108BFloat16EEEvlN5torch10headeronly6detail27GenericPackedTensorAccessorINS7_14TensorAccessorINS3_8ArrayRefIlEET_Lm3ENS6_16DefaultPtrTraitsElEENS_6detail16IndexBoundsCheckILm4ElEESC_Lm4ESD_lEENS8_INS9_ISB_lLm2ESD_lEENSG_ILm3ElEElLm3ESD_lEENS8_INS9_ISB_SC_Lm2ESD_lEESK_SC_Lm3ESD_lEEPKSC_l.num_vgpr, 27
	.set _ZN2at6native12_GLOBAL__N_135nll_loss2d_forward_no_reduce_kernelIN3c108BFloat16EEEvlN5torch10headeronly6detail27GenericPackedTensorAccessorINS7_14TensorAccessorINS3_8ArrayRefIlEET_Lm3ENS6_16DefaultPtrTraitsElEENS_6detail16IndexBoundsCheckILm4ElEESC_Lm4ESD_lEENS8_INS9_ISB_lLm2ESD_lEENSG_ILm3ElEElLm3ESD_lEENS8_INS9_ISB_SC_Lm2ESD_lEESK_SC_Lm3ESD_lEEPKSC_l.num_agpr, 0
	.set _ZN2at6native12_GLOBAL__N_135nll_loss2d_forward_no_reduce_kernelIN3c108BFloat16EEEvlN5torch10headeronly6detail27GenericPackedTensorAccessorINS7_14TensorAccessorINS3_8ArrayRefIlEET_Lm3ENS6_16DefaultPtrTraitsElEENS_6detail16IndexBoundsCheckILm4ElEESC_Lm4ESD_lEENS8_INS9_ISB_lLm2ESD_lEENSG_ILm3ElEElLm3ESD_lEENS8_INS9_ISB_SC_Lm2ESD_lEESK_SC_Lm3ESD_lEEPKSC_l.numbered_sgpr, 65
	.set _ZN2at6native12_GLOBAL__N_135nll_loss2d_forward_no_reduce_kernelIN3c108BFloat16EEEvlN5torch10headeronly6detail27GenericPackedTensorAccessorINS7_14TensorAccessorINS3_8ArrayRefIlEET_Lm3ENS6_16DefaultPtrTraitsElEENS_6detail16IndexBoundsCheckILm4ElEESC_Lm4ESD_lEENS8_INS9_ISB_lLm2ESD_lEENSG_ILm3ElEElLm3ESD_lEENS8_INS9_ISB_SC_Lm2ESD_lEESK_SC_Lm3ESD_lEEPKSC_l.num_named_barrier, 0
	.set _ZN2at6native12_GLOBAL__N_135nll_loss2d_forward_no_reduce_kernelIN3c108BFloat16EEEvlN5torch10headeronly6detail27GenericPackedTensorAccessorINS7_14TensorAccessorINS3_8ArrayRefIlEET_Lm3ENS6_16DefaultPtrTraitsElEENS_6detail16IndexBoundsCheckILm4ElEESC_Lm4ESD_lEENS8_INS9_ISB_lLm2ESD_lEENSG_ILm3ElEElLm3ESD_lEENS8_INS9_ISB_SC_Lm2ESD_lEESK_SC_Lm3ESD_lEEPKSC_l.private_seg_size, 0
	.set _ZN2at6native12_GLOBAL__N_135nll_loss2d_forward_no_reduce_kernelIN3c108BFloat16EEEvlN5torch10headeronly6detail27GenericPackedTensorAccessorINS7_14TensorAccessorINS3_8ArrayRefIlEET_Lm3ENS6_16DefaultPtrTraitsElEENS_6detail16IndexBoundsCheckILm4ElEESC_Lm4ESD_lEENS8_INS9_ISB_lLm2ESD_lEENSG_ILm3ElEElLm3ESD_lEENS8_INS9_ISB_SC_Lm2ESD_lEESK_SC_Lm3ESD_lEEPKSC_l.uses_vcc, 1
	.set _ZN2at6native12_GLOBAL__N_135nll_loss2d_forward_no_reduce_kernelIN3c108BFloat16EEEvlN5torch10headeronly6detail27GenericPackedTensorAccessorINS7_14TensorAccessorINS3_8ArrayRefIlEET_Lm3ENS6_16DefaultPtrTraitsElEENS_6detail16IndexBoundsCheckILm4ElEESC_Lm4ESD_lEENS8_INS9_ISB_lLm2ESD_lEENSG_ILm3ElEElLm3ESD_lEENS8_INS9_ISB_SC_Lm2ESD_lEESK_SC_Lm3ESD_lEEPKSC_l.uses_flat_scratch, 0
	.set _ZN2at6native12_GLOBAL__N_135nll_loss2d_forward_no_reduce_kernelIN3c108BFloat16EEEvlN5torch10headeronly6detail27GenericPackedTensorAccessorINS7_14TensorAccessorINS3_8ArrayRefIlEET_Lm3ENS6_16DefaultPtrTraitsElEENS_6detail16IndexBoundsCheckILm4ElEESC_Lm4ESD_lEENS8_INS9_ISB_lLm2ESD_lEENSG_ILm3ElEElLm3ESD_lEENS8_INS9_ISB_SC_Lm2ESD_lEESK_SC_Lm3ESD_lEEPKSC_l.has_dyn_sized_stack, 0
	.set _ZN2at6native12_GLOBAL__N_135nll_loss2d_forward_no_reduce_kernelIN3c108BFloat16EEEvlN5torch10headeronly6detail27GenericPackedTensorAccessorINS7_14TensorAccessorINS3_8ArrayRefIlEET_Lm3ENS6_16DefaultPtrTraitsElEENS_6detail16IndexBoundsCheckILm4ElEESC_Lm4ESD_lEENS8_INS9_ISB_lLm2ESD_lEENSG_ILm3ElEElLm3ESD_lEENS8_INS9_ISB_SC_Lm2ESD_lEESK_SC_Lm3ESD_lEEPKSC_l.has_recursion, 0
	.set _ZN2at6native12_GLOBAL__N_135nll_loss2d_forward_no_reduce_kernelIN3c108BFloat16EEEvlN5torch10headeronly6detail27GenericPackedTensorAccessorINS7_14TensorAccessorINS3_8ArrayRefIlEET_Lm3ENS6_16DefaultPtrTraitsElEENS_6detail16IndexBoundsCheckILm4ElEESC_Lm4ESD_lEENS8_INS9_ISB_lLm2ESD_lEENSG_ILm3ElEElLm3ESD_lEENS8_INS9_ISB_SC_Lm2ESD_lEESK_SC_Lm3ESD_lEEPKSC_l.has_indirect_call, 0
	.section	.AMDGPU.csdata,"",@progbits
; Kernel info:
; codeLenInByte = 4228
; TotalNumSgprs: 67
; NumVgprs: 27
; ScratchSize: 0
; MemoryBound: 0
; FloatMode: 240
; IeeeMode: 1
; LDSByteSize: 0 bytes/workgroup (compile time only)
; SGPRBlocks: 0
; VGPRBlocks: 3
; NumSGPRsForWavesPerEU: 67
; NumVGPRsForWavesPerEU: 27
; Occupancy: 16
; WaveLimiterHint : 1
; COMPUTE_PGM_RSRC2:SCRATCH_EN: 0
; COMPUTE_PGM_RSRC2:USER_SGPR: 6
; COMPUTE_PGM_RSRC2:TRAP_HANDLER: 0
; COMPUTE_PGM_RSRC2:TGID_X_EN: 1
; COMPUTE_PGM_RSRC2:TGID_Y_EN: 0
; COMPUTE_PGM_RSRC2:TGID_Z_EN: 0
; COMPUTE_PGM_RSRC2:TIDIG_COMP_CNT: 0
	.section	.text._ZN2at6native12_GLOBAL__N_125nll_loss2d_forward_kernelIddiEEvPT_S4_PKS3_PKlS6_iiil,"axG",@progbits,_ZN2at6native12_GLOBAL__N_125nll_loss2d_forward_kernelIddiEEvPT_S4_PKS3_PKlS6_iiil,comdat
	.globl	_ZN2at6native12_GLOBAL__N_125nll_loss2d_forward_kernelIddiEEvPT_S4_PKS3_PKlS6_iiil ; -- Begin function _ZN2at6native12_GLOBAL__N_125nll_loss2d_forward_kernelIddiEEvPT_S4_PKS3_PKlS6_iiil
	.p2align	8
	.type	_ZN2at6native12_GLOBAL__N_125nll_loss2d_forward_kernelIddiEEvPT_S4_PKS3_PKlS6_iiil,@function
_ZN2at6native12_GLOBAL__N_125nll_loss2d_forward_kernelIddiEEvPT_S4_PKS3_PKlS6_iiil: ; @_ZN2at6native12_GLOBAL__N_125nll_loss2d_forward_kernelIddiEEvPT_S4_PKS3_PKlS6_iiil
; %bb.0:
	s_clause 0x3
	s_load_dwordx4 s[16:19], s[4:5], 0x28
	s_load_dwordx2 s[2:3], s[4:5], 0x20
	s_load_dword s7, s[4:5], 0x4c
	s_load_dwordx8 s[8:15], s[4:5], 0x0
	v_mov_b32_e32 v5, 0
	v_mov_b32_e32 v7, 0
	;; [unrolled: 1-line block ×4, first 2 shown]
	s_mov_b32 s21, -1
	s_waitcnt lgkmcnt(0)
	v_cvt_f32_u32_e32 v1, s18
	s_sub_i32 s1, 0, s18
	v_rcp_iflag_f32_e32 v1, v1
	v_mul_f32_e32 v1, 0x4f7ffffe, v1
	v_cvt_u32_f32_e32 v1, v1
	v_readfirstlane_b32 s0, v1
	s_mul_i32 s1, s1, s0
	s_mul_hi_u32 s1, s0, s1
	s_add_i32 s0, s0, s1
	s_mul_hi_u32 s0, s6, s0
	s_mul_i32 s1, s0, s18
	s_add_i32 s19, s0, 1
	s_sub_i32 s1, s6, s1
	s_sub_i32 s20, s1, s18
	s_cmp_ge_u32 s1, s18
	s_cselect_b32 s0, s19, s0
	s_cselect_b32 s1, s20, s1
	s_add_i32 s19, s0, 1
	s_cmp_ge_u32 s1, s18
	s_cselect_b32 s0, s19, s0
	s_and_b32 s1, s7, 0xffff
	s_mul_i32 s19, s0, s18
	s_mov_b32 s7, 0
	s_sub_i32 s20, s6, s19
	s_mov_b32 s6, 0
	s_mul_i32 s20, s20, s1
	s_mov_b32 s19, exec_lo
	v_add_nc_u32_e32 v12, s20, v0
	v_cmpx_gt_i32_e64 s17, v12
	s_cbranch_execnz .LBB4_6
; %bb.1:
	s_or_b32 exec_lo, exec_lo, s19
	s_and_saveexec_b32 s0, s21
	s_xor_b32 s2, exec_lo, s0
	s_cbranch_execnz .LBB4_22
.LBB4_2:
	s_or_b32 exec_lo, exec_lo, s2
	s_mov_b32 s0, 0
	s_and_saveexec_b32 s1, s7
	s_cbranch_execnz .LBB4_48
.LBB4_3:
	s_or_b32 exec_lo, exec_lo, s1
	s_and_saveexec_b32 s1, s6
	s_cbranch_execnz .LBB4_49
.LBB4_4:
	s_or_b32 exec_lo, exec_lo, s1
	s_and_saveexec_b32 s1, s0
	s_cbranch_execnz .LBB4_50
.LBB4_5:
	s_endpgm
.LBB4_6:
	s_mul_i32 s21, s0, s17
	s_load_dwordx2 s[4:5], s[4:5], 0x38
	v_add3_u32 v3, s20, s21, v0
	s_mul_i32 s6, s18, s1
	s_cmp_lg_u64 s[2:3], 0
	v_mov_b32_e32 v1, 0
	v_mov_b32_e32 v2, 0
	v_ashrrev_i32_e32 v4, 31, v3
	v_mov_b32_e32 v8, 0
	s_cselect_b32 s20, -1, 0
	s_ashr_i32 s7, s6, 31
	s_mul_i32 s21, s21, s16
	v_lshlrev_b64 v[5:6], 3, v[3:4]
	v_mov_b32_e32 v3, 0
	v_mov_b32_e32 v4, 0
	s_mov_b32 s22, 0
                                        ; implicit-def: $sgpr18
	v_add_co_u32 v5, vcc_lo, s14, v5
	v_add_co_ci_u32_e64 v6, null, s15, v6, vcc_lo
	s_lshl_b64 s[14:15], s[6:7], 3
                                        ; implicit-def: $sgpr7
	s_branch .LBB4_8
.LBB4_7:                                ;   in Loop: Header=BB4_8 Depth=1
	s_or_b32 exec_lo, exec_lo, s26
	s_xor_b32 s0, s25, -1
	s_xor_b32 s24, s24, -1
	s_and_b32 s23, exec_lo, s23
	s_or_b32 s22, s23, s22
	s_andn2_b32 s7, s7, exec_lo
	s_and_b32 s0, s0, exec_lo
	s_andn2_b32 s18, s18, exec_lo
	s_and_b32 s23, s24, exec_lo
	s_or_b32 s7, s7, s0
	s_or_b32 s18, s18, s23
	s_andn2_b32 exec_lo, exec_lo, s22
	s_cbranch_execz .LBB4_19
.LBB4_8:                                ; =>This Inner Loop Header: Depth=1
	global_load_dwordx2 v[9:10], v[5:6], off
	s_mov_b32 s0, -1
	s_mov_b32 s23, exec_lo
                                        ; implicit-def: $sgpr24
                                        ; implicit-def: $sgpr25
	s_waitcnt vmcnt(0)
	v_ashrrev_i32_e32 v10, 31, v9
	s_waitcnt lgkmcnt(0)
	v_cmpx_ne_u64_e64 s[4:5], v[9:10]
	s_cbranch_execz .LBB4_17
; %bb.9:                                ;   in Loop: Header=BB4_8 Depth=1
	v_cmp_lt_i32_e32 vcc_lo, -1, v9
	v_cmp_gt_i32_e64 s0, s16, v9
	s_mov_b32 s24, -1
	s_mov_b32 s26, 0
	s_mov_b32 s25, 0
	s_and_b32 s27, vcc_lo, s0
	s_and_saveexec_b32 s0, s27
	s_cbranch_execz .LBB4_16
; %bb.10:                               ;   in Loop: Header=BB4_8 Depth=1
	s_andn2_b32 vcc_lo, exec_lo, s20
	s_cbranch_vccnz .LBB4_12
; %bb.11:                               ;   in Loop: Header=BB4_8 Depth=1
	v_lshlrev_b64 v[10:11], 3, v[9:10]
	v_add_co_u32 v10, vcc_lo, s2, v10
	v_add_co_ci_u32_e64 v11, null, s3, v11, vcc_lo
	global_load_dwordx2 v[10:11], v[10:11], off
	s_branch .LBB4_13
.LBB4_12:                               ;   in Loop: Header=BB4_8 Depth=1
	v_mov_b32_e32 v10, 0
	v_mov_b32_e32 v11, 0x3ff00000
.LBB4_13:                               ;   in Loop: Header=BB4_8 Depth=1
	v_mul_lo_u32 v7, s17, v9
	s_mov_b32 s24, exec_lo
	v_add3_u32 v7, s21, v12, v7
	v_cmpx_lt_i32_e32 -1, v7
	s_cbranch_execz .LBB4_15
; %bb.14:                               ;   in Loop: Header=BB4_8 Depth=1
	v_lshlrev_b64 v[13:14], 3, v[7:8]
	s_waitcnt vmcnt(0)
	v_add_f64 v[3:4], v[3:4], v[10:11]
	s_mov_b32 s26, exec_lo
	v_add_co_u32 v13, vcc_lo, s12, v13
	v_add_co_ci_u32_e64 v14, null, s13, v14, vcc_lo
	global_load_dwordx2 v[13:14], v[13:14], off
	s_waitcnt vmcnt(0)
	v_fma_f64 v[1:2], -v[10:11], v[13:14], v[1:2]
.LBB4_15:                               ;   in Loop: Header=BB4_8 Depth=1
	s_or_b32 exec_lo, exec_lo, s24
	s_mov_b32 s25, exec_lo
	s_xor_b32 s24, exec_lo, -1
	s_and_b32 s26, s26, exec_lo
.LBB4_16:                               ;   in Loop: Header=BB4_8 Depth=1
	s_or_b32 exec_lo, exec_lo, s0
	s_orn2_b32 s0, s26, exec_lo
.LBB4_17:                               ;   in Loop: Header=BB4_8 Depth=1
	s_or_b32 exec_lo, exec_lo, s23
	s_mov_b32 s23, -1
	s_and_saveexec_b32 s26, s0
	s_cbranch_execz .LBB4_7
; %bb.18:                               ;   in Loop: Header=BB4_8 Depth=1
	v_add_nc_u32_e32 v12, s6, v12
	v_add_co_u32 v5, s0, v5, s14
	v_add_co_ci_u32_e64 v6, null, s15, v6, s0
	v_cmp_le_i32_e32 vcc_lo, s17, v12
	s_andn2_b32 s25, s25, exec_lo
	s_andn2_b32 s24, s24, exec_lo
	s_orn2_b32 s23, vcc_lo, exec_lo
	s_branch .LBB4_7
.LBB4_19:
	s_or_b32 exec_lo, exec_lo, s22
	v_mov_b32_e32 v5, 0
	v_mov_b32_e32 v7, 0
	;; [unrolled: 1-line block ×4, first 2 shown]
	s_mov_b32 s2, 0
	s_mov_b32 s4, -1
	s_mov_b32 s0, 0
	s_and_saveexec_b32 s3, s18
	s_xor_b32 s3, exec_lo, s3
; %bb.20:
	v_mov_b32_e32 v6, v2
	v_mov_b32_e32 v8, v4
	;; [unrolled: 1-line block ×4, first 2 shown]
	s_mov_b32 s0, exec_lo
	s_xor_b32 s4, exec_lo, -1
	s_and_b32 s2, s7, exec_lo
; %bb.21:
	s_or_b32 exec_lo, exec_lo, s3
	s_and_b32 s6, s4, exec_lo
	s_and_b32 s7, s0, exec_lo
	s_orn2_b32 s21, s2, exec_lo
	s_or_b32 exec_lo, exec_lo, s19
	s_and_saveexec_b32 s0, s21
	s_xor_b32 s2, exec_lo, s0
	s_cbranch_execz .LBB4_2
.LBB4_22:
	s_waitcnt vmcnt(0)
	v_mbcnt_lo_u32_b32 v11, -1, 0
	v_and_b32_e32 v13, 31, v0
	v_lshrrev_b32_e32 v12, 2, v0
	s_barrier
	v_lshl_or_b32 v9, v11, 2, 64
	v_cmp_gt_u32_e32 vcc_lo, 24, v11
	buffer_gl0_inv
	ds_bpermute_b32 v1, v9, v7
	ds_bpermute_b32 v2, v9, v8
	v_cndmask_b32_e64 v3, 0, 8, vcc_lo
	v_cmp_gt_u32_e32 vcc_lo, 28, v11
	s_waitcnt lgkmcnt(0)
	v_add_f64 v[1:2], v[7:8], v[1:2]
	v_add_lshl_u32 v7, v3, v11, 2
	ds_bpermute_b32 v3, v7, v1
	ds_bpermute_b32 v4, v7, v2
	s_waitcnt lgkmcnt(0)
	v_add_f64 v[1:2], v[1:2], v[3:4]
	v_cndmask_b32_e64 v3, 0, 4, vcc_lo
	v_cmp_gt_u32_e32 vcc_lo, 30, v11
	v_add_lshl_u32 v8, v3, v11, 2
	ds_bpermute_b32 v3, v8, v1
	ds_bpermute_b32 v4, v8, v2
	s_waitcnt lgkmcnt(0)
	v_add_f64 v[1:2], v[1:2], v[3:4]
	v_cndmask_b32_e64 v3, 0, 2, vcc_lo
	v_cmp_ne_u32_e32 vcc_lo, 31, v11
	v_add_lshl_u32 v10, v3, v11, 2
	ds_bpermute_b32 v3, v10, v1
	ds_bpermute_b32 v4, v10, v2
	s_waitcnt lgkmcnt(0)
	v_add_f64 v[1:2], v[1:2], v[3:4]
	v_add_co_ci_u32_e64 v3, null, 0, v11, vcc_lo
	v_cmp_eq_u32_e32 vcc_lo, 0, v13
	v_lshlrev_b32_e32 v11, 2, v3
	ds_bpermute_b32 v3, v11, v1
	ds_bpermute_b32 v4, v11, v2
	s_and_saveexec_b32 s0, vcc_lo
	s_cbranch_execz .LBB4_24
; %bb.23:
	s_waitcnt lgkmcnt(0)
	v_add_f64 v[1:2], v[1:2], v[3:4]
	ds_write_b64 v12, v[1:2] offset:8192
.LBB4_24:
	s_or_b32 exec_lo, exec_lo, s0
	s_lshr_b32 s0, s1, 5
	v_mov_b32_e32 v1, 0
	v_mov_b32_e32 v2, 0
	v_cmp_gt_u32_e64 s0, s0, v0
	v_lshlrev_b32_e32 v13, 3, v13
	s_waitcnt lgkmcnt(0)
	s_barrier
	buffer_gl0_inv
	s_and_saveexec_b32 s1, s0
; %bb.25:
	ds_read_b64 v[1:2], v13 offset:8192
; %bb.26:
	s_or_b32 exec_lo, exec_lo, s1
	v_cmp_gt_u32_e64 s1, 32, v0
	s_and_saveexec_b32 s3, s1
	s_cbranch_execz .LBB4_28
; %bb.27:
	s_waitcnt lgkmcnt(0)
	ds_bpermute_b32 v3, v9, v1
	ds_bpermute_b32 v4, v9, v2
	s_waitcnt lgkmcnt(0)
	v_add_f64 v[1:2], v[1:2], v[3:4]
	ds_bpermute_b32 v3, v7, v1
	ds_bpermute_b32 v4, v7, v2
	s_waitcnt lgkmcnt(0)
	v_add_f64 v[1:2], v[1:2], v[3:4]
	;; [unrolled: 4-line block ×5, first 2 shown]
.LBB4_28:
	s_or_b32 exec_lo, exec_lo, s3
	ds_bpermute_b32 v3, v9, v5
	ds_bpermute_b32 v4, v9, v6
	s_waitcnt lgkmcnt(0)
	s_barrier
	buffer_gl0_inv
	v_add_f64 v[3:4], v[5:6], v[3:4]
	ds_bpermute_b32 v5, v7, v3
	ds_bpermute_b32 v6, v7, v4
	s_waitcnt lgkmcnt(0)
	v_add_f64 v[3:4], v[3:4], v[5:6]
	ds_bpermute_b32 v5, v8, v3
	ds_bpermute_b32 v6, v8, v4
	s_waitcnt lgkmcnt(0)
	;; [unrolled: 4-line block ×3, first 2 shown]
	v_add_f64 v[3:4], v[3:4], v[5:6]
	ds_bpermute_b32 v5, v11, v3
	ds_bpermute_b32 v6, v11, v4
	s_and_saveexec_b32 s3, vcc_lo
	s_cbranch_execz .LBB4_30
; %bb.29:
	s_waitcnt lgkmcnt(0)
	v_add_f64 v[3:4], v[3:4], v[5:6]
	ds_write_b64 v12, v[3:4]
.LBB4_30:
	s_or_b32 exec_lo, exec_lo, s3
	s_waitcnt lgkmcnt(1)
	v_mov_b32_e32 v4, 0
	v_mov_b32_e32 v5, 0
	s_waitcnt lgkmcnt(0)
	s_barrier
	buffer_gl0_inv
	s_and_saveexec_b32 s3, s0
; %bb.31:
	ds_read_b64 v[4:5], v13
; %bb.32:
	s_or_b32 exec_lo, exec_lo, s3
	s_and_saveexec_b32 s0, s1
	s_cbranch_execz .LBB4_34
; %bb.33:
	s_waitcnt lgkmcnt(0)
	ds_bpermute_b32 v12, v9, v4
	ds_bpermute_b32 v13, v9, v5
	s_waitcnt lgkmcnt(0)
	v_add_f64 v[3:4], v[4:5], v[12:13]
	ds_bpermute_b32 v5, v7, v3
	ds_bpermute_b32 v6, v7, v4
	s_waitcnt lgkmcnt(0)
	v_add_f64 v[3:4], v[3:4], v[5:6]
	;; [unrolled: 4-line block ×5, first 2 shown]
.LBB4_34:
	s_or_b32 exec_lo, exec_lo, s0
	s_mov_b32 s0, exec_lo
	v_cmpx_eq_u32_e32 0, v0
	s_cbranch_execz .LBB4_47
; %bb.35:
	v_mov_b32_e32 v6, 0
	v_bfrev_b32_e32 v7, 1
	s_mov_b32 s1, exec_lo
.LBB4_36:                               ; =>This Inner Loop Header: Depth=1
	s_ff1_i32_b32 s3, s1
	v_readlane_b32 s5, v2, s3
	v_readlane_b32 s4, v1, s3
	s_lshl_b32 s3, 1, s3
	s_andn2_b32 s1, s1, s3
	v_add_f64 v[6:7], v[6:7], s[4:5]
	s_cmp_lg_u32 s1, 0
	s_cbranch_scc1 .LBB4_36
; %bb.37:
	v_mbcnt_lo_u32_b32 v0, exec_lo, 0
	s_mov_b32 s3, 0
	s_mov_b32 s1, exec_lo
	v_cmpx_eq_u32_e32 0, v0
	s_xor_b32 s1, exec_lo, s1
	s_cbranch_execz .LBB4_41
; %bb.38:
	s_load_dwordx2 s[4:5], s[10:11], 0x0
	v_mov_b32_e32 v8, 0
	s_waitcnt lgkmcnt(0)
	v_mov_b32_e32 v2, s4
	v_mov_b32_e32 v3, s5
.LBB4_39:                               ; =>This Inner Loop Header: Depth=1
	v_add_f64 v[0:1], v[2:3], v[6:7]
	global_atomic_cmpswap_x2 v[0:1], v8, v[0:3], s[10:11] glc
	s_waitcnt vmcnt(0)
	v_cmp_eq_u64_e32 vcc_lo, v[0:1], v[2:3]
	v_mov_b32_e32 v3, v1
	v_mov_b32_e32 v2, v0
	s_or_b32 s3, vcc_lo, s3
	s_andn2_b32 exec_lo, exec_lo, s3
	s_cbranch_execnz .LBB4_39
; %bb.40:
	s_or_b32 exec_lo, exec_lo, s3
.LBB4_41:
	s_or_b32 exec_lo, exec_lo, s1
	v_mov_b32_e32 v6, 0
	v_bfrev_b32_e32 v7, 1
	s_mov_b32 s1, exec_lo
.LBB4_42:                               ; =>This Inner Loop Header: Depth=1
	s_ff1_i32_b32 s3, s1
	s_waitcnt lgkmcnt(0)
	v_readlane_b32 s5, v5, s3
	v_readlane_b32 s4, v4, s3
	s_lshl_b32 s3, 1, s3
	s_andn2_b32 s1, s1, s3
	v_add_f64 v[6:7], v[6:7], s[4:5]
	s_cmp_lg_u32 s1, 0
	s_cbranch_scc1 .LBB4_42
; %bb.43:
	v_mbcnt_lo_u32_b32 v0, exec_lo, 0
	s_mov_b32 s1, 0
	s_mov_b32 s3, exec_lo
	v_cmpx_eq_u32_e32 0, v0
	s_xor_b32 s3, exec_lo, s3
	s_cbranch_execz .LBB4_47
; %bb.44:
	v_mov_b32_e32 v4, 0
	global_load_dwordx2 v[2:3], v4, s[8:9]
.LBB4_45:                               ; =>This Inner Loop Header: Depth=1
	s_waitcnt vmcnt(0)
	v_add_f64 v[0:1], v[2:3], v[6:7]
	global_atomic_cmpswap_x2 v[0:1], v4, v[0:3], s[8:9] glc
	s_waitcnt vmcnt(0)
	v_cmp_eq_u64_e32 vcc_lo, v[0:1], v[2:3]
	v_mov_b32_e32 v3, v1
	v_mov_b32_e32 v2, v0
	s_or_b32 s1, vcc_lo, s1
	s_andn2_b32 exec_lo, exec_lo, s1
	s_cbranch_execnz .LBB4_45
; %bb.46:
	s_or_b32 exec_lo, exec_lo, s1
.LBB4_47:
	s_or_b32 exec_lo, exec_lo, s0
	s_andn2_b32 s7, s7, exec_lo
	s_or_b32 exec_lo, exec_lo, s2
	s_mov_b32 s0, 0
	s_and_saveexec_b32 s1, s7
	s_cbranch_execz .LBB4_3
.LBB4_48:
	s_mov_b32 s0, exec_lo
	s_trap 2
	s_or_b32 exec_lo, exec_lo, s1
	s_and_saveexec_b32 s1, s6
	s_cbranch_execz .LBB4_4
.LBB4_49:
	s_or_b32 s0, s0, exec_lo
	s_trap 2
	s_or_b32 exec_lo, exec_lo, s1
	s_and_saveexec_b32 s1, s0
	s_cbranch_execz .LBB4_5
.LBB4_50:
	; divergent unreachable
	s_endpgm
	.section	.rodata,"a",@progbits
	.p2align	6, 0x0
	.amdhsa_kernel _ZN2at6native12_GLOBAL__N_125nll_loss2d_forward_kernelIddiEEvPT_S4_PKS3_PKlS6_iiil
		.amdhsa_group_segment_fixed_size 16384
		.amdhsa_private_segment_fixed_size 0
		.amdhsa_kernarg_size 320
		.amdhsa_user_sgpr_count 6
		.amdhsa_user_sgpr_private_segment_buffer 1
		.amdhsa_user_sgpr_dispatch_ptr 0
		.amdhsa_user_sgpr_queue_ptr 0
		.amdhsa_user_sgpr_kernarg_segment_ptr 1
		.amdhsa_user_sgpr_dispatch_id 0
		.amdhsa_user_sgpr_flat_scratch_init 0
		.amdhsa_user_sgpr_private_segment_size 0
		.amdhsa_wavefront_size32 1
		.amdhsa_uses_dynamic_stack 0
		.amdhsa_system_sgpr_private_segment_wavefront_offset 0
		.amdhsa_system_sgpr_workgroup_id_x 1
		.amdhsa_system_sgpr_workgroup_id_y 0
		.amdhsa_system_sgpr_workgroup_id_z 0
		.amdhsa_system_sgpr_workgroup_info 0
		.amdhsa_system_vgpr_workitem_id 0
		.amdhsa_next_free_vgpr 15
		.amdhsa_next_free_sgpr 28
		.amdhsa_reserve_vcc 1
		.amdhsa_reserve_flat_scratch 0
		.amdhsa_float_round_mode_32 0
		.amdhsa_float_round_mode_16_64 0
		.amdhsa_float_denorm_mode_32 3
		.amdhsa_float_denorm_mode_16_64 3
		.amdhsa_dx10_clamp 1
		.amdhsa_ieee_mode 1
		.amdhsa_fp16_overflow 0
		.amdhsa_workgroup_processor_mode 1
		.amdhsa_memory_ordered 1
		.amdhsa_forward_progress 1
		.amdhsa_shared_vgpr_count 0
		.amdhsa_exception_fp_ieee_invalid_op 0
		.amdhsa_exception_fp_denorm_src 0
		.amdhsa_exception_fp_ieee_div_zero 0
		.amdhsa_exception_fp_ieee_overflow 0
		.amdhsa_exception_fp_ieee_underflow 0
		.amdhsa_exception_fp_ieee_inexact 0
		.amdhsa_exception_int_div_zero 0
	.end_amdhsa_kernel
	.section	.text._ZN2at6native12_GLOBAL__N_125nll_loss2d_forward_kernelIddiEEvPT_S4_PKS3_PKlS6_iiil,"axG",@progbits,_ZN2at6native12_GLOBAL__N_125nll_loss2d_forward_kernelIddiEEvPT_S4_PKS3_PKlS6_iiil,comdat
.Lfunc_end4:
	.size	_ZN2at6native12_GLOBAL__N_125nll_loss2d_forward_kernelIddiEEvPT_S4_PKS3_PKlS6_iiil, .Lfunc_end4-_ZN2at6native12_GLOBAL__N_125nll_loss2d_forward_kernelIddiEEvPT_S4_PKS3_PKlS6_iiil
                                        ; -- End function
	.set _ZN2at6native12_GLOBAL__N_125nll_loss2d_forward_kernelIddiEEvPT_S4_PKS3_PKlS6_iiil.num_vgpr, 15
	.set _ZN2at6native12_GLOBAL__N_125nll_loss2d_forward_kernelIddiEEvPT_S4_PKS3_PKlS6_iiil.num_agpr, 0
	.set _ZN2at6native12_GLOBAL__N_125nll_loss2d_forward_kernelIddiEEvPT_S4_PKS3_PKlS6_iiil.numbered_sgpr, 28
	.set _ZN2at6native12_GLOBAL__N_125nll_loss2d_forward_kernelIddiEEvPT_S4_PKS3_PKlS6_iiil.num_named_barrier, 0
	.set _ZN2at6native12_GLOBAL__N_125nll_loss2d_forward_kernelIddiEEvPT_S4_PKS3_PKlS6_iiil.private_seg_size, 0
	.set _ZN2at6native12_GLOBAL__N_125nll_loss2d_forward_kernelIddiEEvPT_S4_PKS3_PKlS6_iiil.uses_vcc, 1
	.set _ZN2at6native12_GLOBAL__N_125nll_loss2d_forward_kernelIddiEEvPT_S4_PKS3_PKlS6_iiil.uses_flat_scratch, 0
	.set _ZN2at6native12_GLOBAL__N_125nll_loss2d_forward_kernelIddiEEvPT_S4_PKS3_PKlS6_iiil.has_dyn_sized_stack, 0
	.set _ZN2at6native12_GLOBAL__N_125nll_loss2d_forward_kernelIddiEEvPT_S4_PKS3_PKlS6_iiil.has_recursion, 0
	.set _ZN2at6native12_GLOBAL__N_125nll_loss2d_forward_kernelIddiEEvPT_S4_PKS3_PKlS6_iiil.has_indirect_call, 0
	.section	.AMDGPU.csdata,"",@progbits
; Kernel info:
; codeLenInByte = 2068
; TotalNumSgprs: 30
; NumVgprs: 15
; ScratchSize: 0
; MemoryBound: 0
; FloatMode: 240
; IeeeMode: 1
; LDSByteSize: 16384 bytes/workgroup (compile time only)
; SGPRBlocks: 0
; VGPRBlocks: 1
; NumSGPRsForWavesPerEU: 30
; NumVGPRsForWavesPerEU: 15
; Occupancy: 16
; WaveLimiterHint : 1
; COMPUTE_PGM_RSRC2:SCRATCH_EN: 0
; COMPUTE_PGM_RSRC2:USER_SGPR: 6
; COMPUTE_PGM_RSRC2:TRAP_HANDLER: 0
; COMPUTE_PGM_RSRC2:TGID_X_EN: 1
; COMPUTE_PGM_RSRC2:TGID_Y_EN: 0
; COMPUTE_PGM_RSRC2:TGID_Z_EN: 0
; COMPUTE_PGM_RSRC2:TIDIG_COMP_CNT: 0
	.section	.text._ZN2at6native12_GLOBAL__N_138nll_loss2d_forward_size_average_kernelIdEEvPT_PKS3_,"axG",@progbits,_ZN2at6native12_GLOBAL__N_138nll_loss2d_forward_size_average_kernelIdEEvPT_PKS3_,comdat
	.globl	_ZN2at6native12_GLOBAL__N_138nll_loss2d_forward_size_average_kernelIdEEvPT_PKS3_ ; -- Begin function _ZN2at6native12_GLOBAL__N_138nll_loss2d_forward_size_average_kernelIdEEvPT_PKS3_
	.p2align	8
	.type	_ZN2at6native12_GLOBAL__N_138nll_loss2d_forward_size_average_kernelIdEEvPT_PKS3_,@function
_ZN2at6native12_GLOBAL__N_138nll_loss2d_forward_size_average_kernelIdEEvPT_PKS3_: ; @_ZN2at6native12_GLOBAL__N_138nll_loss2d_forward_size_average_kernelIdEEvPT_PKS3_
; %bb.0:
	s_load_dwordx4 s[0:3], s[4:5], 0x0
	s_waitcnt lgkmcnt(0)
	s_load_dwordx2 s[2:3], s[2:3], 0x0
	s_load_dwordx2 s[4:5], s[0:1], 0x0
	s_waitcnt lgkmcnt(0)
	v_div_scale_f64 v[0:1], null, s[2:3], s[2:3], s[4:5]
	v_rcp_f64_e32 v[2:3], v[0:1]
	v_fma_f64 v[4:5], -v[0:1], v[2:3], 1.0
	v_fma_f64 v[2:3], v[2:3], v[4:5], v[2:3]
	v_fma_f64 v[4:5], -v[0:1], v[2:3], 1.0
	v_fma_f64 v[2:3], v[2:3], v[4:5], v[2:3]
	v_div_scale_f64 v[4:5], vcc_lo, s[4:5], s[2:3], s[4:5]
	v_mul_f64 v[6:7], v[4:5], v[2:3]
	v_fma_f64 v[0:1], -v[0:1], v[6:7], v[4:5]
	v_div_fmas_f64 v[0:1], v[0:1], v[2:3], v[6:7]
	v_mov_b32_e32 v2, 0
	v_div_fixup_f64 v[0:1], v[0:1], s[2:3], s[4:5]
	global_store_dwordx2 v2, v[0:1], s[0:1]
	s_endpgm
	.section	.rodata,"a",@progbits
	.p2align	6, 0x0
	.amdhsa_kernel _ZN2at6native12_GLOBAL__N_138nll_loss2d_forward_size_average_kernelIdEEvPT_PKS3_
		.amdhsa_group_segment_fixed_size 0
		.amdhsa_private_segment_fixed_size 0
		.amdhsa_kernarg_size 16
		.amdhsa_user_sgpr_count 6
		.amdhsa_user_sgpr_private_segment_buffer 1
		.amdhsa_user_sgpr_dispatch_ptr 0
		.amdhsa_user_sgpr_queue_ptr 0
		.amdhsa_user_sgpr_kernarg_segment_ptr 1
		.amdhsa_user_sgpr_dispatch_id 0
		.amdhsa_user_sgpr_flat_scratch_init 0
		.amdhsa_user_sgpr_private_segment_size 0
		.amdhsa_wavefront_size32 1
		.amdhsa_uses_dynamic_stack 0
		.amdhsa_system_sgpr_private_segment_wavefront_offset 0
		.amdhsa_system_sgpr_workgroup_id_x 1
		.amdhsa_system_sgpr_workgroup_id_y 0
		.amdhsa_system_sgpr_workgroup_id_z 0
		.amdhsa_system_sgpr_workgroup_info 0
		.amdhsa_system_vgpr_workitem_id 0
		.amdhsa_next_free_vgpr 8
		.amdhsa_next_free_sgpr 6
		.amdhsa_reserve_vcc 1
		.amdhsa_reserve_flat_scratch 0
		.amdhsa_float_round_mode_32 0
		.amdhsa_float_round_mode_16_64 0
		.amdhsa_float_denorm_mode_32 3
		.amdhsa_float_denorm_mode_16_64 3
		.amdhsa_dx10_clamp 1
		.amdhsa_ieee_mode 1
		.amdhsa_fp16_overflow 0
		.amdhsa_workgroup_processor_mode 1
		.amdhsa_memory_ordered 1
		.amdhsa_forward_progress 1
		.amdhsa_shared_vgpr_count 0
		.amdhsa_exception_fp_ieee_invalid_op 0
		.amdhsa_exception_fp_denorm_src 0
		.amdhsa_exception_fp_ieee_div_zero 0
		.amdhsa_exception_fp_ieee_overflow 0
		.amdhsa_exception_fp_ieee_underflow 0
		.amdhsa_exception_fp_ieee_inexact 0
		.amdhsa_exception_int_div_zero 0
	.end_amdhsa_kernel
	.section	.text._ZN2at6native12_GLOBAL__N_138nll_loss2d_forward_size_average_kernelIdEEvPT_PKS3_,"axG",@progbits,_ZN2at6native12_GLOBAL__N_138nll_loss2d_forward_size_average_kernelIdEEvPT_PKS3_,comdat
.Lfunc_end5:
	.size	_ZN2at6native12_GLOBAL__N_138nll_loss2d_forward_size_average_kernelIdEEvPT_PKS3_, .Lfunc_end5-_ZN2at6native12_GLOBAL__N_138nll_loss2d_forward_size_average_kernelIdEEvPT_PKS3_
                                        ; -- End function
	.set _ZN2at6native12_GLOBAL__N_138nll_loss2d_forward_size_average_kernelIdEEvPT_PKS3_.num_vgpr, 8
	.set _ZN2at6native12_GLOBAL__N_138nll_loss2d_forward_size_average_kernelIdEEvPT_PKS3_.num_agpr, 0
	.set _ZN2at6native12_GLOBAL__N_138nll_loss2d_forward_size_average_kernelIdEEvPT_PKS3_.numbered_sgpr, 6
	.set _ZN2at6native12_GLOBAL__N_138nll_loss2d_forward_size_average_kernelIdEEvPT_PKS3_.num_named_barrier, 0
	.set _ZN2at6native12_GLOBAL__N_138nll_loss2d_forward_size_average_kernelIdEEvPT_PKS3_.private_seg_size, 0
	.set _ZN2at6native12_GLOBAL__N_138nll_loss2d_forward_size_average_kernelIdEEvPT_PKS3_.uses_vcc, 1
	.set _ZN2at6native12_GLOBAL__N_138nll_loss2d_forward_size_average_kernelIdEEvPT_PKS3_.uses_flat_scratch, 0
	.set _ZN2at6native12_GLOBAL__N_138nll_loss2d_forward_size_average_kernelIdEEvPT_PKS3_.has_dyn_sized_stack, 0
	.set _ZN2at6native12_GLOBAL__N_138nll_loss2d_forward_size_average_kernelIdEEvPT_PKS3_.has_recursion, 0
	.set _ZN2at6native12_GLOBAL__N_138nll_loss2d_forward_size_average_kernelIdEEvPT_PKS3_.has_indirect_call, 0
	.section	.AMDGPU.csdata,"",@progbits
; Kernel info:
; codeLenInByte = 132
; TotalNumSgprs: 8
; NumVgprs: 8
; ScratchSize: 0
; MemoryBound: 1
; FloatMode: 240
; IeeeMode: 1
; LDSByteSize: 0 bytes/workgroup (compile time only)
; SGPRBlocks: 0
; VGPRBlocks: 0
; NumSGPRsForWavesPerEU: 8
; NumVGPRsForWavesPerEU: 8
; Occupancy: 16
; WaveLimiterHint : 1
; COMPUTE_PGM_RSRC2:SCRATCH_EN: 0
; COMPUTE_PGM_RSRC2:USER_SGPR: 6
; COMPUTE_PGM_RSRC2:TRAP_HANDLER: 0
; COMPUTE_PGM_RSRC2:TGID_X_EN: 1
; COMPUTE_PGM_RSRC2:TGID_Y_EN: 0
; COMPUTE_PGM_RSRC2:TGID_Z_EN: 0
; COMPUTE_PGM_RSRC2:TIDIG_COMP_CNT: 0
	.section	.text._ZN2at6native12_GLOBAL__N_125nll_loss2d_forward_kernelIddlEEvPT_S4_PKS3_PKlS6_iiil,"axG",@progbits,_ZN2at6native12_GLOBAL__N_125nll_loss2d_forward_kernelIddlEEvPT_S4_PKS3_PKlS6_iiil,comdat
	.globl	_ZN2at6native12_GLOBAL__N_125nll_loss2d_forward_kernelIddlEEvPT_S4_PKS3_PKlS6_iiil ; -- Begin function _ZN2at6native12_GLOBAL__N_125nll_loss2d_forward_kernelIddlEEvPT_S4_PKS3_PKlS6_iiil
	.p2align	8
	.type	_ZN2at6native12_GLOBAL__N_125nll_loss2d_forward_kernelIddlEEvPT_S4_PKS3_PKlS6_iiil,@function
_ZN2at6native12_GLOBAL__N_125nll_loss2d_forward_kernelIddlEEvPT_S4_PKS3_PKlS6_iiil: ; @_ZN2at6native12_GLOBAL__N_125nll_loss2d_forward_kernelIddlEEvPT_S4_PKS3_PKlS6_iiil
; %bb.0:
	s_clause 0x2
	s_load_dwordx4 s[16:19], s[4:5], 0x28
	s_load_dwordx2 s[2:3], s[4:5], 0x20
	s_load_dword s7, s[4:5], 0x4c
	v_mov_b32_e32 v6, 0
	v_mov_b32_e32 v8, 0
	;; [unrolled: 1-line block ×4, first 2 shown]
	s_mov_b32 s20, -1
	s_waitcnt lgkmcnt(0)
	v_cvt_f32_u32_e32 v1, s18
	s_sub_i32 s1, 0, s18
	v_rcp_iflag_f32_e32 v1, v1
	v_mul_f32_e32 v1, 0x4f7ffffe, v1
	v_cvt_u32_f32_e32 v1, v1
	v_readfirstlane_b32 s0, v1
	s_mul_i32 s1, s1, s0
	s_mul_hi_u32 s1, s0, s1
	s_add_i32 s0, s0, s1
	s_mul_hi_u32 s0, s6, s0
	s_mul_i32 s1, s0, s18
	s_add_i32 s8, s0, 1
	s_sub_i32 s1, s6, s1
	s_sub_i32 s9, s1, s18
	s_cmp_ge_u32 s1, s18
	s_cselect_b32 s0, s8, s0
	s_cselect_b32 s1, s9, s1
	s_load_dwordx8 s[8:15], s[4:5], 0x0
	s_add_i32 s19, s0, 1
	s_cmp_ge_u32 s1, s18
	s_cselect_b32 s0, s19, s0
	s_and_b32 s1, s7, 0xffff
	s_mul_i32 s19, s0, s18
	s_mov_b32 s7, 0
	s_sub_i32 s6, s6, s19
	s_mov_b32 s19, exec_lo
	v_mad_u64_u32 v[1:2], null, s6, s1, v[0:1]
	s_mov_b32 s6, 0
	v_cmpx_gt_i32_e64 s17, v1
	s_cbranch_execnz .LBB6_6
; %bb.1:
	s_or_b32 exec_lo, exec_lo, s19
	s_and_saveexec_b32 s0, s20
	s_xor_b32 s2, exec_lo, s0
	s_cbranch_execnz .LBB6_22
.LBB6_2:
	s_or_b32 exec_lo, exec_lo, s2
	s_mov_b32 s0, 0
	s_and_saveexec_b32 s1, s7
	s_cbranch_execnz .LBB6_48
.LBB6_3:
	s_or_b32 exec_lo, exec_lo, s1
	s_and_saveexec_b32 s1, s6
	s_cbranch_execnz .LBB6_49
.LBB6_4:
	s_or_b32 exec_lo, exec_lo, s1
	s_and_saveexec_b32 s1, s0
	s_cbranch_execnz .LBB6_50
.LBB6_5:
	s_endpgm
.LBB6_6:
	s_load_dwordx2 s[4:5], s[4:5], 0x38
	s_ashr_i32 s20, s17, 31
	v_ashrrev_i32_e32 v2, 31, v1
	s_mul_hi_u32 s6, s0, s17
	s_mul_i32 s7, s0, s20
	s_mov_b32 s21, s17
	s_add_i32 s23, s6, s7
	s_mul_i32 s22, s0, s17
	s_ashr_i32 s17, s16, 31
	s_cmp_lg_u64 s[2:3], 0
	v_lshlrev_b64 v[3:4], 3, v[1:2]
	v_mad_u64_u32 v[6:7], null, s22, s16, v[1:2]
	s_mul_i32 s6, s18, s1
	s_cselect_b32 s18, -1, 0
	s_lshl_b64 s[24:25], s[22:23], 3
	s_waitcnt lgkmcnt(0)
	s_add_u32 s0, s14, s24
	s_addc_u32 s7, s15, s25
	v_add_co_u32 v8, vcc_lo, s0, v3
	s_mul_i32 s0, s22, s17
	s_mul_i32 s14, s23, s16
	v_add_co_ci_u32_e64 v9, null, s7, v4, vcc_lo
	v_mov_b32_e32 v2, 0
	v_mov_b32_e32 v4, 0
	v_add3_u32 v7, s0, s14, v7
	v_mov_b32_e32 v3, 0
	v_mov_b32_e32 v5, 0
	s_ashr_i32 s7, s6, 31
	s_mov_b32 s24, 0
	s_lshl_b64 s[14:15], s[6:7], 3
                                        ; implicit-def: $sgpr23
                                        ; implicit-def: $sgpr22
	s_branch .LBB6_8
.LBB6_7:                                ;   in Loop: Header=BB6_8 Depth=1
	s_or_b32 exec_lo, exec_lo, s25
	s_xor_b32 s0, s27, -1
	s_xor_b32 s25, s26, -1
	s_and_b32 s26, exec_lo, s28
	s_or_b32 s24, s26, s24
	s_andn2_b32 s22, s22, exec_lo
	s_and_b32 s0, s0, exec_lo
	s_andn2_b32 s23, s23, exec_lo
	s_and_b32 s25, s25, exec_lo
	s_or_b32 s22, s22, s0
	s_or_b32 s23, s23, s25
	s_andn2_b32 exec_lo, exec_lo, s24
	s_cbranch_execz .LBB6_19
.LBB6_8:                                ; =>This Inner Loop Header: Depth=1
	global_load_dwordx2 v[10:11], v[8:9], off
	s_mov_b32 s0, -1
	s_mov_b32 s25, exec_lo
                                        ; implicit-def: $sgpr26
                                        ; implicit-def: $sgpr27
	s_waitcnt vmcnt(0)
	v_cmpx_ne_u64_e64 s[4:5], v[10:11]
	s_cbranch_execz .LBB6_17
; %bb.9:                                ;   in Loop: Header=BB6_8 Depth=1
	v_cmp_lt_i64_e32 vcc_lo, -1, v[10:11]
	v_cmp_gt_i64_e64 s0, s[16:17], v[10:11]
	s_mov_b32 s26, -1
	s_mov_b32 s28, 0
	s_mov_b32 s27, 0
	s_and_b32 s29, vcc_lo, s0
	s_and_saveexec_b32 s0, s29
	s_cbranch_execz .LBB6_16
; %bb.10:                               ;   in Loop: Header=BB6_8 Depth=1
	s_andn2_b32 vcc_lo, exec_lo, s18
	s_cbranch_vccnz .LBB6_12
; %bb.11:                               ;   in Loop: Header=BB6_8 Depth=1
	v_lshlrev_b64 v[12:13], 3, v[10:11]
	v_add_co_u32 v12, vcc_lo, s2, v12
	v_add_co_ci_u32_e64 v13, null, s3, v13, vcc_lo
	global_load_dwordx2 v[12:13], v[12:13], off
	s_branch .LBB6_13
.LBB6_12:                               ;   in Loop: Header=BB6_8 Depth=1
	v_mov_b32_e32 v12, 0
	v_mov_b32_e32 v13, 0x3ff00000
.LBB6_13:                               ;   in Loop: Header=BB6_8 Depth=1
	v_mad_u64_u32 v[14:15], null, v10, s21, v[6:7]
	v_mul_lo_u32 v10, v10, s20
	v_mul_lo_u32 v11, v11, s21
	s_mov_b32 s26, exec_lo
	v_add3_u32 v15, v11, v15, v10
	v_cmpx_lt_i64_e32 -1, v[14:15]
	s_cbranch_execz .LBB6_15
; %bb.14:                               ;   in Loop: Header=BB6_8 Depth=1
	v_lshlrev_b64 v[10:11], 3, v[14:15]
	s_waitcnt vmcnt(0)
	v_add_f64 v[4:5], v[4:5], v[12:13]
	s_mov_b32 s28, exec_lo
	v_add_co_u32 v10, vcc_lo, s12, v10
	v_add_co_ci_u32_e64 v11, null, s13, v11, vcc_lo
	global_load_dwordx2 v[10:11], v[10:11], off
	s_waitcnt vmcnt(0)
	v_fma_f64 v[2:3], -v[12:13], v[10:11], v[2:3]
.LBB6_15:                               ;   in Loop: Header=BB6_8 Depth=1
	s_or_b32 exec_lo, exec_lo, s26
	s_mov_b32 s27, exec_lo
	s_xor_b32 s26, exec_lo, -1
	s_and_b32 s28, s28, exec_lo
.LBB6_16:                               ;   in Loop: Header=BB6_8 Depth=1
	s_or_b32 exec_lo, exec_lo, s0
	s_orn2_b32 s0, s28, exec_lo
.LBB6_17:                               ;   in Loop: Header=BB6_8 Depth=1
	s_or_b32 exec_lo, exec_lo, s25
	s_mov_b32 s28, -1
	s_and_saveexec_b32 s25, s0
	s_cbranch_execz .LBB6_7
; %bb.18:                               ;   in Loop: Header=BB6_8 Depth=1
	v_add_nc_u32_e32 v1, s6, v1
	v_add_co_u32 v8, vcc_lo, v8, s14
	v_add_co_ci_u32_e64 v9, null, s15, v9, vcc_lo
	v_cmp_le_i32_e32 vcc_lo, s21, v1
	v_add_co_u32 v6, s0, v6, s6
	v_add_co_ci_u32_e64 v7, null, s7, v7, s0
	s_andn2_b32 s27, s27, exec_lo
	s_andn2_b32 s26, s26, exec_lo
	s_orn2_b32 s28, vcc_lo, exec_lo
	s_branch .LBB6_7
.LBB6_19:
	s_or_b32 exec_lo, exec_lo, s24
	v_mov_b32_e32 v6, 0
	v_mov_b32_e32 v8, 0
	;; [unrolled: 1-line block ×4, first 2 shown]
	s_mov_b32 s2, 0
	s_mov_b32 s4, -1
	s_mov_b32 s0, 0
	s_and_saveexec_b32 s3, s23
	s_xor_b32 s3, exec_lo, s3
; %bb.20:
	v_mov_b32_e32 v7, v3
	v_mov_b32_e32 v9, v5
	;; [unrolled: 1-line block ×4, first 2 shown]
	s_mov_b32 s0, exec_lo
	s_xor_b32 s4, exec_lo, -1
	s_and_b32 s2, s22, exec_lo
; %bb.21:
	s_or_b32 exec_lo, exec_lo, s3
	s_and_b32 s6, s4, exec_lo
	s_and_b32 s7, s0, exec_lo
	s_orn2_b32 s20, s2, exec_lo
	s_or_b32 exec_lo, exec_lo, s19
	s_and_saveexec_b32 s0, s20
	s_xor_b32 s2, exec_lo, s0
	s_cbranch_execz .LBB6_2
.LBB6_22:
	v_mbcnt_lo_u32_b32 v5, -1, 0
	s_waitcnt vmcnt(0)
	v_lshrrev_b32_e32 v13, 2, v0
	s_waitcnt lgkmcnt(0)
	s_barrier
	buffer_gl0_inv
	v_lshl_or_b32 v10, v5, 2, 64
	v_cmp_gt_u32_e32 vcc_lo, 24, v5
	ds_bpermute_b32 v1, v10, v8
	ds_bpermute_b32 v2, v10, v9
	v_cndmask_b32_e64 v3, 0, 8, vcc_lo
	v_cmp_gt_u32_e32 vcc_lo, 28, v5
	s_waitcnt lgkmcnt(0)
	v_add_f64 v[1:2], v[8:9], v[1:2]
	v_add_lshl_u32 v8, v3, v5, 2
	ds_bpermute_b32 v3, v8, v1
	ds_bpermute_b32 v4, v8, v2
	s_waitcnt lgkmcnt(0)
	v_add_f64 v[1:2], v[1:2], v[3:4]
	v_cndmask_b32_e64 v3, 0, 4, vcc_lo
	v_cmp_gt_u32_e32 vcc_lo, 30, v5
	v_add_lshl_u32 v9, v3, v5, 2
	ds_bpermute_b32 v3, v9, v1
	ds_bpermute_b32 v4, v9, v2
	s_waitcnt lgkmcnt(0)
	v_add_f64 v[1:2], v[1:2], v[3:4]
	v_cndmask_b32_e64 v3, 0, 2, vcc_lo
	v_cmp_ne_u32_e32 vcc_lo, 31, v5
	v_add_lshl_u32 v11, v3, v5, 2
	ds_bpermute_b32 v3, v11, v1
	ds_bpermute_b32 v4, v11, v2
	s_waitcnt lgkmcnt(0)
	v_add_f64 v[1:2], v[1:2], v[3:4]
	v_add_co_ci_u32_e64 v3, null, 0, v5, vcc_lo
	v_and_b32_e32 v5, 31, v0
	v_lshlrev_b32_e32 v12, 2, v3
	v_cmp_eq_u32_e32 vcc_lo, 0, v5
	ds_bpermute_b32 v3, v12, v1
	ds_bpermute_b32 v4, v12, v2
	s_and_saveexec_b32 s0, vcc_lo
	s_cbranch_execz .LBB6_24
; %bb.23:
	s_waitcnt lgkmcnt(0)
	v_add_f64 v[1:2], v[1:2], v[3:4]
	ds_write_b64 v13, v[1:2] offset:8192
.LBB6_24:
	s_or_b32 exec_lo, exec_lo, s0
	s_lshr_b32 s0, s1, 5
	v_mov_b32_e32 v1, 0
	v_mov_b32_e32 v2, 0
	v_cmp_gt_u32_e64 s0, s0, v0
	v_lshlrev_b32_e32 v14, 3, v5
	s_waitcnt lgkmcnt(0)
	s_barrier
	buffer_gl0_inv
	s_and_saveexec_b32 s1, s0
; %bb.25:
	ds_read_b64 v[1:2], v14 offset:8192
; %bb.26:
	s_or_b32 exec_lo, exec_lo, s1
	v_cmp_gt_u32_e64 s1, 32, v0
	s_and_saveexec_b32 s3, s1
	s_cbranch_execz .LBB6_28
; %bb.27:
	s_waitcnt lgkmcnt(0)
	ds_bpermute_b32 v3, v10, v1
	ds_bpermute_b32 v4, v10, v2
	s_waitcnt lgkmcnt(0)
	v_add_f64 v[1:2], v[1:2], v[3:4]
	ds_bpermute_b32 v3, v8, v1
	ds_bpermute_b32 v4, v8, v2
	s_waitcnt lgkmcnt(0)
	v_add_f64 v[1:2], v[1:2], v[3:4]
	;; [unrolled: 4-line block ×5, first 2 shown]
.LBB6_28:
	s_or_b32 exec_lo, exec_lo, s3
	ds_bpermute_b32 v3, v10, v6
	ds_bpermute_b32 v4, v10, v7
	s_waitcnt lgkmcnt(0)
	s_barrier
	buffer_gl0_inv
	v_add_f64 v[3:4], v[6:7], v[3:4]
	ds_bpermute_b32 v5, v8, v3
	ds_bpermute_b32 v6, v8, v4
	s_waitcnt lgkmcnt(0)
	v_add_f64 v[3:4], v[3:4], v[5:6]
	ds_bpermute_b32 v5, v9, v3
	ds_bpermute_b32 v6, v9, v4
	s_waitcnt lgkmcnt(0)
	v_add_f64 v[3:4], v[3:4], v[5:6]
	ds_bpermute_b32 v5, v11, v3
	ds_bpermute_b32 v6, v11, v4
	s_waitcnt lgkmcnt(0)
	v_add_f64 v[3:4], v[3:4], v[5:6]
	ds_bpermute_b32 v5, v12, v3
	ds_bpermute_b32 v6, v12, v4
	s_and_saveexec_b32 s3, vcc_lo
	s_cbranch_execz .LBB6_30
; %bb.29:
	s_waitcnt lgkmcnt(0)
	v_add_f64 v[3:4], v[3:4], v[5:6]
	ds_write_b64 v13, v[3:4]
.LBB6_30:
	s_or_b32 exec_lo, exec_lo, s3
	s_waitcnt lgkmcnt(1)
	v_mov_b32_e32 v4, 0
	v_mov_b32_e32 v5, 0
	s_waitcnt lgkmcnt(0)
	s_barrier
	buffer_gl0_inv
	s_and_saveexec_b32 s3, s0
; %bb.31:
	ds_read_b64 v[4:5], v14
; %bb.32:
	s_or_b32 exec_lo, exec_lo, s3
	s_and_saveexec_b32 s0, s1
	s_cbranch_execz .LBB6_34
; %bb.33:
	s_waitcnt lgkmcnt(0)
	ds_bpermute_b32 v6, v10, v4
	ds_bpermute_b32 v7, v10, v5
	s_waitcnt lgkmcnt(0)
	v_add_f64 v[3:4], v[4:5], v[6:7]
	ds_bpermute_b32 v5, v8, v3
	ds_bpermute_b32 v6, v8, v4
	s_waitcnt lgkmcnt(0)
	v_add_f64 v[3:4], v[3:4], v[5:6]
	;; [unrolled: 4-line block ×5, first 2 shown]
.LBB6_34:
	s_or_b32 exec_lo, exec_lo, s0
	s_mov_b32 s0, exec_lo
	v_cmpx_eq_u32_e32 0, v0
	s_cbranch_execz .LBB6_47
; %bb.35:
	v_mov_b32_e32 v6, 0
	v_bfrev_b32_e32 v7, 1
	s_mov_b32 s1, exec_lo
.LBB6_36:                               ; =>This Inner Loop Header: Depth=1
	s_ff1_i32_b32 s3, s1
	v_readlane_b32 s5, v2, s3
	v_readlane_b32 s4, v1, s3
	s_lshl_b32 s3, 1, s3
	s_andn2_b32 s1, s1, s3
	v_add_f64 v[6:7], v[6:7], s[4:5]
	s_cmp_lg_u32 s1, 0
	s_cbranch_scc1 .LBB6_36
; %bb.37:
	v_mbcnt_lo_u32_b32 v0, exec_lo, 0
	s_mov_b32 s3, 0
	s_mov_b32 s1, exec_lo
	v_cmpx_eq_u32_e32 0, v0
	s_xor_b32 s1, exec_lo, s1
	s_cbranch_execz .LBB6_41
; %bb.38:
	s_load_dwordx2 s[4:5], s[10:11], 0x0
	v_mov_b32_e32 v8, 0
	s_waitcnt lgkmcnt(0)
	v_mov_b32_e32 v2, s4
	v_mov_b32_e32 v3, s5
.LBB6_39:                               ; =>This Inner Loop Header: Depth=1
	v_add_f64 v[0:1], v[2:3], v[6:7]
	global_atomic_cmpswap_x2 v[0:1], v8, v[0:3], s[10:11] glc
	s_waitcnt vmcnt(0)
	v_cmp_eq_u64_e32 vcc_lo, v[0:1], v[2:3]
	v_mov_b32_e32 v3, v1
	v_mov_b32_e32 v2, v0
	s_or_b32 s3, vcc_lo, s3
	s_andn2_b32 exec_lo, exec_lo, s3
	s_cbranch_execnz .LBB6_39
; %bb.40:
	s_or_b32 exec_lo, exec_lo, s3
.LBB6_41:
	s_or_b32 exec_lo, exec_lo, s1
	v_mov_b32_e32 v6, 0
	v_bfrev_b32_e32 v7, 1
	s_mov_b32 s1, exec_lo
.LBB6_42:                               ; =>This Inner Loop Header: Depth=1
	s_ff1_i32_b32 s3, s1
	s_waitcnt lgkmcnt(0)
	v_readlane_b32 s5, v5, s3
	v_readlane_b32 s4, v4, s3
	s_lshl_b32 s3, 1, s3
	s_andn2_b32 s1, s1, s3
	v_add_f64 v[6:7], v[6:7], s[4:5]
	s_cmp_lg_u32 s1, 0
	s_cbranch_scc1 .LBB6_42
; %bb.43:
	v_mbcnt_lo_u32_b32 v0, exec_lo, 0
	s_mov_b32 s1, 0
	s_mov_b32 s3, exec_lo
	v_cmpx_eq_u32_e32 0, v0
	s_xor_b32 s3, exec_lo, s3
	s_cbranch_execz .LBB6_47
; %bb.44:
	v_mov_b32_e32 v4, 0
	global_load_dwordx2 v[2:3], v4, s[8:9]
.LBB6_45:                               ; =>This Inner Loop Header: Depth=1
	s_waitcnt vmcnt(0)
	v_add_f64 v[0:1], v[2:3], v[6:7]
	global_atomic_cmpswap_x2 v[0:1], v4, v[0:3], s[8:9] glc
	s_waitcnt vmcnt(0)
	v_cmp_eq_u64_e32 vcc_lo, v[0:1], v[2:3]
	v_mov_b32_e32 v3, v1
	v_mov_b32_e32 v2, v0
	s_or_b32 s1, vcc_lo, s1
	s_andn2_b32 exec_lo, exec_lo, s1
	s_cbranch_execnz .LBB6_45
; %bb.46:
	s_or_b32 exec_lo, exec_lo, s1
.LBB6_47:
	s_or_b32 exec_lo, exec_lo, s0
	s_andn2_b32 s7, s7, exec_lo
	s_or_b32 exec_lo, exec_lo, s2
	s_mov_b32 s0, 0
	s_and_saveexec_b32 s1, s7
	s_cbranch_execz .LBB6_3
.LBB6_48:
	s_mov_b32 s0, exec_lo
	s_trap 2
	s_or_b32 exec_lo, exec_lo, s1
	s_and_saveexec_b32 s1, s6
	s_cbranch_execz .LBB6_4
.LBB6_49:
	s_or_b32 s0, s0, exec_lo
	s_trap 2
	s_or_b32 exec_lo, exec_lo, s1
	s_and_saveexec_b32 s1, s0
	s_cbranch_execz .LBB6_5
.LBB6_50:
	; divergent unreachable
	s_endpgm
	.section	.rodata,"a",@progbits
	.p2align	6, 0x0
	.amdhsa_kernel _ZN2at6native12_GLOBAL__N_125nll_loss2d_forward_kernelIddlEEvPT_S4_PKS3_PKlS6_iiil
		.amdhsa_group_segment_fixed_size 16384
		.amdhsa_private_segment_fixed_size 0
		.amdhsa_kernarg_size 320
		.amdhsa_user_sgpr_count 6
		.amdhsa_user_sgpr_private_segment_buffer 1
		.amdhsa_user_sgpr_dispatch_ptr 0
		.amdhsa_user_sgpr_queue_ptr 0
		.amdhsa_user_sgpr_kernarg_segment_ptr 1
		.amdhsa_user_sgpr_dispatch_id 0
		.amdhsa_user_sgpr_flat_scratch_init 0
		.amdhsa_user_sgpr_private_segment_size 0
		.amdhsa_wavefront_size32 1
		.amdhsa_uses_dynamic_stack 0
		.amdhsa_system_sgpr_private_segment_wavefront_offset 0
		.amdhsa_system_sgpr_workgroup_id_x 1
		.amdhsa_system_sgpr_workgroup_id_y 0
		.amdhsa_system_sgpr_workgroup_id_z 0
		.amdhsa_system_sgpr_workgroup_info 0
		.amdhsa_system_vgpr_workitem_id 0
		.amdhsa_next_free_vgpr 16
		.amdhsa_next_free_sgpr 30
		.amdhsa_reserve_vcc 1
		.amdhsa_reserve_flat_scratch 0
		.amdhsa_float_round_mode_32 0
		.amdhsa_float_round_mode_16_64 0
		.amdhsa_float_denorm_mode_32 3
		.amdhsa_float_denorm_mode_16_64 3
		.amdhsa_dx10_clamp 1
		.amdhsa_ieee_mode 1
		.amdhsa_fp16_overflow 0
		.amdhsa_workgroup_processor_mode 1
		.amdhsa_memory_ordered 1
		.amdhsa_forward_progress 1
		.amdhsa_shared_vgpr_count 0
		.amdhsa_exception_fp_ieee_invalid_op 0
		.amdhsa_exception_fp_denorm_src 0
		.amdhsa_exception_fp_ieee_div_zero 0
		.amdhsa_exception_fp_ieee_overflow 0
		.amdhsa_exception_fp_ieee_underflow 0
		.amdhsa_exception_fp_ieee_inexact 0
		.amdhsa_exception_int_div_zero 0
	.end_amdhsa_kernel
	.section	.text._ZN2at6native12_GLOBAL__N_125nll_loss2d_forward_kernelIddlEEvPT_S4_PKS3_PKlS6_iiil,"axG",@progbits,_ZN2at6native12_GLOBAL__N_125nll_loss2d_forward_kernelIddlEEvPT_S4_PKS3_PKlS6_iiil,comdat
.Lfunc_end6:
	.size	_ZN2at6native12_GLOBAL__N_125nll_loss2d_forward_kernelIddlEEvPT_S4_PKS3_PKlS6_iiil, .Lfunc_end6-_ZN2at6native12_GLOBAL__N_125nll_loss2d_forward_kernelIddlEEvPT_S4_PKS3_PKlS6_iiil
                                        ; -- End function
	.set _ZN2at6native12_GLOBAL__N_125nll_loss2d_forward_kernelIddlEEvPT_S4_PKS3_PKlS6_iiil.num_vgpr, 16
	.set _ZN2at6native12_GLOBAL__N_125nll_loss2d_forward_kernelIddlEEvPT_S4_PKS3_PKlS6_iiil.num_agpr, 0
	.set _ZN2at6native12_GLOBAL__N_125nll_loss2d_forward_kernelIddlEEvPT_S4_PKS3_PKlS6_iiil.numbered_sgpr, 30
	.set _ZN2at6native12_GLOBAL__N_125nll_loss2d_forward_kernelIddlEEvPT_S4_PKS3_PKlS6_iiil.num_named_barrier, 0
	.set _ZN2at6native12_GLOBAL__N_125nll_loss2d_forward_kernelIddlEEvPT_S4_PKS3_PKlS6_iiil.private_seg_size, 0
	.set _ZN2at6native12_GLOBAL__N_125nll_loss2d_forward_kernelIddlEEvPT_S4_PKS3_PKlS6_iiil.uses_vcc, 1
	.set _ZN2at6native12_GLOBAL__N_125nll_loss2d_forward_kernelIddlEEvPT_S4_PKS3_PKlS6_iiil.uses_flat_scratch, 0
	.set _ZN2at6native12_GLOBAL__N_125nll_loss2d_forward_kernelIddlEEvPT_S4_PKS3_PKlS6_iiil.has_dyn_sized_stack, 0
	.set _ZN2at6native12_GLOBAL__N_125nll_loss2d_forward_kernelIddlEEvPT_S4_PKS3_PKlS6_iiil.has_recursion, 0
	.set _ZN2at6native12_GLOBAL__N_125nll_loss2d_forward_kernelIddlEEvPT_S4_PKS3_PKlS6_iiil.has_indirect_call, 0
	.section	.AMDGPU.csdata,"",@progbits
; Kernel info:
; codeLenInByte = 2144
; TotalNumSgprs: 32
; NumVgprs: 16
; ScratchSize: 0
; MemoryBound: 0
; FloatMode: 240
; IeeeMode: 1
; LDSByteSize: 16384 bytes/workgroup (compile time only)
; SGPRBlocks: 0
; VGPRBlocks: 1
; NumSGPRsForWavesPerEU: 32
; NumVGPRsForWavesPerEU: 16
; Occupancy: 16
; WaveLimiterHint : 1
; COMPUTE_PGM_RSRC2:SCRATCH_EN: 0
; COMPUTE_PGM_RSRC2:USER_SGPR: 6
; COMPUTE_PGM_RSRC2:TRAP_HANDLER: 0
; COMPUTE_PGM_RSRC2:TGID_X_EN: 1
; COMPUTE_PGM_RSRC2:TGID_Y_EN: 0
; COMPUTE_PGM_RSRC2:TGID_Z_EN: 0
; COMPUTE_PGM_RSRC2:TIDIG_COMP_CNT: 0
	.section	.text._ZN2at6native12_GLOBAL__N_125nll_loss2d_forward_kernelIffiEEvPT_S4_PKS3_PKlS6_iiil,"axG",@progbits,_ZN2at6native12_GLOBAL__N_125nll_loss2d_forward_kernelIffiEEvPT_S4_PKS3_PKlS6_iiil,comdat
	.globl	_ZN2at6native12_GLOBAL__N_125nll_loss2d_forward_kernelIffiEEvPT_S4_PKS3_PKlS6_iiil ; -- Begin function _ZN2at6native12_GLOBAL__N_125nll_loss2d_forward_kernelIffiEEvPT_S4_PKS3_PKlS6_iiil
	.p2align	8
	.type	_ZN2at6native12_GLOBAL__N_125nll_loss2d_forward_kernelIffiEEvPT_S4_PKS3_PKlS6_iiil,@function
_ZN2at6native12_GLOBAL__N_125nll_loss2d_forward_kernelIffiEEvPT_S4_PKS3_PKlS6_iiil: ; @_ZN2at6native12_GLOBAL__N_125nll_loss2d_forward_kernelIffiEEvPT_S4_PKS3_PKlS6_iiil
; %bb.0:
	s_clause 0x2
	s_load_dwordx4 s[16:19], s[4:5], 0x28
	s_load_dwordx2 s[2:3], s[4:5], 0x20
	s_load_dword s7, s[4:5], 0x4c
	v_mov_b32_e32 v4, 0
	s_mov_b32 s21, -1
	s_waitcnt lgkmcnt(0)
	v_cvt_f32_u32_e32 v1, s18
	s_sub_i32 s1, 0, s18
	v_rcp_iflag_f32_e32 v1, v1
	v_mul_f32_e32 v1, 0x4f7ffffe, v1
	v_cvt_u32_f32_e32 v1, v1
	v_readfirstlane_b32 s0, v1
	v_mov_b32_e32 v1, 0
	s_mul_i32 s1, s1, s0
	s_mul_hi_u32 s1, s0, s1
	s_add_i32 s0, s0, s1
	s_mul_hi_u32 s0, s6, s0
	s_mul_i32 s1, s0, s18
	s_add_i32 s8, s0, 1
	s_sub_i32 s1, s6, s1
	s_sub_i32 s9, s1, s18
	s_cmp_ge_u32 s1, s18
	s_cselect_b32 s0, s8, s0
	s_cselect_b32 s1, s9, s1
	s_load_dwordx8 s[8:15], s[4:5], 0x0
	s_add_i32 s19, s0, 1
	s_cmp_ge_u32 s1, s18
	s_cselect_b32 s0, s19, s0
	s_and_b32 s1, s7, 0xffff
	s_mul_i32 s19, s0, s18
	s_mov_b32 s7, 0
	s_sub_i32 s20, s6, s19
	s_mov_b32 s6, 0
	s_mul_i32 s20, s20, s1
	s_mov_b32 s19, exec_lo
	v_add_nc_u32_e32 v7, s20, v0
	v_cmpx_gt_i32_e64 s17, v7
	s_cbranch_execnz .LBB7_6
; %bb.1:
	s_or_b32 exec_lo, exec_lo, s19
	s_and_saveexec_b32 s0, s21
	s_xor_b32 s2, exec_lo, s0
	s_cbranch_execnz .LBB7_22
.LBB7_2:
	s_or_b32 exec_lo, exec_lo, s2
	s_mov_b32 s0, 0
	s_and_saveexec_b32 s1, s7
	s_cbranch_execnz .LBB7_48
.LBB7_3:
	s_or_b32 exec_lo, exec_lo, s1
	s_and_saveexec_b32 s1, s6
	s_cbranch_execnz .LBB7_49
.LBB7_4:
	s_or_b32 exec_lo, exec_lo, s1
	s_and_saveexec_b32 s1, s0
	s_cbranch_execnz .LBB7_50
.LBB7_5:
	s_endpgm
.LBB7_6:
	s_mul_i32 s21, s0, s17
	s_load_dwordx2 s[4:5], s[4:5], 0x38
	v_add3_u32 v3, s20, s21, v0
	s_mul_i32 s6, s18, s1
	s_cmp_lg_u64 s[2:3], 0
	v_mov_b32_e32 v2, 0
	v_mov_b32_e32 v8, 0
	v_ashrrev_i32_e32 v4, 31, v3
	v_mov_b32_e32 v9, 0
	s_cselect_b32 s20, -1, 0
	s_ashr_i32 s7, s6, 31
	s_mul_i32 s21, s21, s16
	v_lshlrev_b64 v[3:4], 3, v[3:4]
	s_mov_b32 s22, 0
                                        ; implicit-def: $sgpr18
	s_waitcnt lgkmcnt(0)
	v_add_co_u32 v3, vcc_lo, s14, v3
	v_add_co_ci_u32_e64 v4, null, s15, v4, vcc_lo
	s_lshl_b64 s[14:15], s[6:7], 3
                                        ; implicit-def: $sgpr7
	s_branch .LBB7_8
.LBB7_7:                                ;   in Loop: Header=BB7_8 Depth=1
	s_or_b32 exec_lo, exec_lo, s26
	s_xor_b32 s0, s25, -1
	s_xor_b32 s24, s24, -1
	s_and_b32 s23, exec_lo, s23
	s_or_b32 s22, s23, s22
	s_andn2_b32 s7, s7, exec_lo
	s_and_b32 s0, s0, exec_lo
	s_andn2_b32 s18, s18, exec_lo
	s_and_b32 s23, s24, exec_lo
	s_or_b32 s7, s7, s0
	s_or_b32 s18, s18, s23
	s_andn2_b32 exec_lo, exec_lo, s22
	s_cbranch_execz .LBB7_19
.LBB7_8:                                ; =>This Inner Loop Header: Depth=1
	global_load_dwordx2 v[5:6], v[3:4], off
	s_mov_b32 s0, -1
	s_mov_b32 s23, exec_lo
                                        ; implicit-def: $sgpr24
                                        ; implicit-def: $sgpr25
	s_waitcnt vmcnt(0)
	v_ashrrev_i32_e32 v6, 31, v5
	v_cmpx_ne_u64_e64 s[4:5], v[5:6]
	s_cbranch_execz .LBB7_17
; %bb.9:                                ;   in Loop: Header=BB7_8 Depth=1
	v_cmp_lt_i32_e32 vcc_lo, -1, v5
	v_cmp_gt_i32_e64 s0, s16, v5
	s_mov_b32 s24, -1
	s_mov_b32 s26, 0
	s_mov_b32 s25, 0
	s_and_b32 s27, vcc_lo, s0
	s_and_saveexec_b32 s0, s27
	s_cbranch_execz .LBB7_16
; %bb.10:                               ;   in Loop: Header=BB7_8 Depth=1
	s_andn2_b32 vcc_lo, exec_lo, s20
	s_cbranch_vccnz .LBB7_12
; %bb.11:                               ;   in Loop: Header=BB7_8 Depth=1
	v_lshlrev_b64 v[10:11], 2, v[5:6]
	v_add_co_u32 v10, vcc_lo, s2, v10
	v_add_co_ci_u32_e64 v11, null, s3, v11, vcc_lo
	global_load_dword v6, v[10:11], off
	s_branch .LBB7_13
.LBB7_12:                               ;   in Loop: Header=BB7_8 Depth=1
	v_mov_b32_e32 v6, 1.0
.LBB7_13:                               ;   in Loop: Header=BB7_8 Depth=1
	v_mul_lo_u32 v1, s17, v5
	s_mov_b32 s24, exec_lo
	v_add3_u32 v1, s21, v7, v1
	v_cmpx_lt_i32_e32 -1, v1
	s_cbranch_execz .LBB7_15
; %bb.14:                               ;   in Loop: Header=BB7_8 Depth=1
	v_lshlrev_b64 v[10:11], 2, v[1:2]
	s_waitcnt vmcnt(0)
	v_add_f32_e32 v9, v9, v6
	s_mov_b32 s26, exec_lo
	v_add_co_u32 v10, vcc_lo, s12, v10
	v_add_co_ci_u32_e64 v11, null, s13, v11, vcc_lo
	global_load_dword v1, v[10:11], off
	s_waitcnt vmcnt(0)
	v_fma_f32 v8, -v6, v1, v8
.LBB7_15:                               ;   in Loop: Header=BB7_8 Depth=1
	s_or_b32 exec_lo, exec_lo, s24
	s_mov_b32 s25, exec_lo
	s_xor_b32 s24, exec_lo, -1
	s_and_b32 s26, s26, exec_lo
.LBB7_16:                               ;   in Loop: Header=BB7_8 Depth=1
	s_or_b32 exec_lo, exec_lo, s0
	s_orn2_b32 s0, s26, exec_lo
.LBB7_17:                               ;   in Loop: Header=BB7_8 Depth=1
	s_or_b32 exec_lo, exec_lo, s23
	s_mov_b32 s23, -1
	s_and_saveexec_b32 s26, s0
	s_cbranch_execz .LBB7_7
; %bb.18:                               ;   in Loop: Header=BB7_8 Depth=1
	v_add_nc_u32_e32 v7, s6, v7
	v_add_co_u32 v3, s0, v3, s14
	v_add_co_ci_u32_e64 v4, null, s15, v4, s0
	v_cmp_le_i32_e32 vcc_lo, s17, v7
	s_andn2_b32 s25, s25, exec_lo
	s_andn2_b32 s24, s24, exec_lo
	s_orn2_b32 s23, vcc_lo, exec_lo
	s_branch .LBB7_7
.LBB7_19:
	s_or_b32 exec_lo, exec_lo, s22
	v_mov_b32_e32 v1, 0
	v_mov_b32_e32 v4, 0
	s_mov_b32 s2, 0
	s_mov_b32 s4, -1
	s_mov_b32 s0, 0
	s_and_saveexec_b32 s3, s18
	s_xor_b32 s3, exec_lo, s3
; %bb.20:
	v_mov_b32_e32 v1, v8
	v_mov_b32_e32 v4, v9
	s_mov_b32 s0, exec_lo
	s_xor_b32 s4, exec_lo, -1
	s_and_b32 s2, s7, exec_lo
; %bb.21:
	s_or_b32 exec_lo, exec_lo, s3
	s_and_b32 s6, s4, exec_lo
	s_and_b32 s7, s0, exec_lo
	s_orn2_b32 s21, s2, exec_lo
	s_or_b32 exec_lo, exec_lo, s19
	s_and_saveexec_b32 s0, s21
	s_xor_b32 s2, exec_lo, s0
	s_cbranch_execz .LBB7_2
.LBB7_22:
	s_waitcnt vmcnt(0)
	v_mbcnt_lo_u32_b32 v6, -1, 0
	v_and_b32_e32 v9, 31, v0
	s_waitcnt lgkmcnt(0)
	s_barrier
	buffer_gl0_inv
	v_lshl_or_b32 v2, v6, 2, 64
	v_cmp_gt_u32_e32 vcc_lo, 24, v6
	ds_bpermute_b32 v5, v2, v4
	v_cndmask_b32_e64 v3, 0, 8, vcc_lo
	v_cmp_gt_u32_e32 vcc_lo, 28, v6
	v_add_lshl_u32 v3, v3, v6, 2
	s_waitcnt lgkmcnt(0)
	v_add_f32_e32 v5, v4, v5
	v_cndmask_b32_e64 v4, 0, 4, vcc_lo
	v_cmp_gt_u32_e32 vcc_lo, 30, v6
	ds_bpermute_b32 v7, v3, v5
	v_add_lshl_u32 v4, v4, v6, 2
	s_waitcnt lgkmcnt(0)
	v_add_f32_e32 v7, v5, v7
	v_cndmask_b32_e64 v5, 0, 2, vcc_lo
	v_cmp_ne_u32_e32 vcc_lo, 31, v6
	ds_bpermute_b32 v8, v4, v7
	v_add_lshl_u32 v5, v5, v6, 2
	v_add_co_ci_u32_e64 v6, null, 0, v6, vcc_lo
	v_cmp_eq_u32_e32 vcc_lo, 0, v9
	v_lshlrev_b32_e32 v6, 2, v6
	s_waitcnt lgkmcnt(0)
	v_add_f32_e32 v7, v7, v8
	ds_bpermute_b32 v8, v5, v7
	s_waitcnt lgkmcnt(0)
	v_add_f32_e32 v7, v7, v8
	v_lshrrev_b32_e32 v8, 3, v0
	ds_bpermute_b32 v10, v6, v7
	s_and_saveexec_b32 s0, vcc_lo
	s_cbranch_execz .LBB7_24
; %bb.23:
	s_waitcnt lgkmcnt(0)
	v_add_f32_e32 v7, v7, v10
	ds_write_b32 v8, v7 offset:4096
.LBB7_24:
	s_or_b32 exec_lo, exec_lo, s0
	s_lshr_b32 s0, s1, 5
	v_mov_b32_e32 v7, 0
	v_cmp_gt_u32_e64 s0, s0, v0
	v_lshlrev_b32_e32 v9, 2, v9
	s_waitcnt lgkmcnt(0)
	s_barrier
	buffer_gl0_inv
	s_and_saveexec_b32 s1, s0
; %bb.25:
	ds_read_b32 v7, v9 offset:4096
; %bb.26:
	s_or_b32 exec_lo, exec_lo, s1
	v_cmp_gt_u32_e64 s1, 32, v0
	s_and_saveexec_b32 s3, s1
	s_cbranch_execz .LBB7_28
; %bb.27:
	s_waitcnt lgkmcnt(0)
	ds_bpermute_b32 v10, v2, v7
	s_waitcnt lgkmcnt(0)
	v_add_f32_e32 v7, v7, v10
	ds_bpermute_b32 v10, v3, v7
	s_waitcnt lgkmcnt(0)
	v_add_f32_e32 v7, v7, v10
	;; [unrolled: 3-line block ×5, first 2 shown]
.LBB7_28:
	s_or_b32 exec_lo, exec_lo, s3
	ds_bpermute_b32 v10, v2, v1
	s_waitcnt lgkmcnt(0)
	s_barrier
	buffer_gl0_inv
	v_add_f32_e32 v1, v1, v10
	ds_bpermute_b32 v10, v3, v1
	s_waitcnt lgkmcnt(0)
	v_add_f32_e32 v1, v1, v10
	ds_bpermute_b32 v10, v4, v1
	s_waitcnt lgkmcnt(0)
	;; [unrolled: 3-line block ×3, first 2 shown]
	v_add_f32_e32 v1, v1, v10
	ds_bpermute_b32 v10, v6, v1
	s_and_saveexec_b32 s3, vcc_lo
	s_cbranch_execz .LBB7_30
; %bb.29:
	s_waitcnt lgkmcnt(0)
	v_add_f32_e32 v1, v1, v10
	ds_write_b32 v8, v1
.LBB7_30:
	s_or_b32 exec_lo, exec_lo, s3
	v_mov_b32_e32 v8, 0
	s_waitcnt lgkmcnt(0)
	s_barrier
	buffer_gl0_inv
	s_and_saveexec_b32 s3, s0
; %bb.31:
	ds_read_b32 v8, v9
; %bb.32:
	s_or_b32 exec_lo, exec_lo, s3
	s_and_saveexec_b32 s0, s1
	s_cbranch_execz .LBB7_34
; %bb.33:
	s_waitcnt lgkmcnt(0)
	ds_bpermute_b32 v1, v2, v8
	s_waitcnt lgkmcnt(0)
	v_add_f32_e32 v1, v8, v1
	ds_bpermute_b32 v2, v3, v1
	s_waitcnt lgkmcnt(0)
	v_add_f32_e32 v1, v1, v2
	;; [unrolled: 3-line block ×5, first 2 shown]
.LBB7_34:
	s_or_b32 exec_lo, exec_lo, s0
	s_mov_b32 s0, exec_lo
	v_cmpx_eq_u32_e32 0, v0
	s_cbranch_execz .LBB7_47
; %bb.35:
	v_bfrev_b32_e32 v2, 1
	s_mov_b32 s1, exec_lo
.LBB7_36:                               ; =>This Inner Loop Header: Depth=1
	s_ff1_i32_b32 s3, s1
	v_readlane_b32 s4, v7, s3
	s_lshl_b32 s3, 1, s3
	s_andn2_b32 s1, s1, s3
	s_cmp_lg_u32 s1, 0
	v_add_f32_e32 v2, s4, v2
	s_cbranch_scc1 .LBB7_36
; %bb.37:
	v_mbcnt_lo_u32_b32 v0, exec_lo, 0
	s_mov_b32 s3, 0
	s_mov_b32 s1, exec_lo
	v_cmpx_eq_u32_e32 0, v0
	s_xor_b32 s1, exec_lo, s1
	s_cbranch_execz .LBB7_41
; %bb.38:
	s_load_dword s4, s[10:11], 0x0
	v_mov_b32_e32 v3, 0
	s_waitcnt lgkmcnt(0)
	v_mov_b32_e32 v1, s4
.LBB7_39:                               ; =>This Inner Loop Header: Depth=1
	v_add_f32_e32 v0, v1, v2
	global_atomic_cmpswap v0, v3, v[0:1], s[10:11] glc
	s_waitcnt vmcnt(0)
	v_cmp_eq_u32_e32 vcc_lo, v0, v1
	v_mov_b32_e32 v1, v0
	s_or_b32 s3, vcc_lo, s3
	s_andn2_b32 exec_lo, exec_lo, s3
	s_cbranch_execnz .LBB7_39
; %bb.40:
	s_or_b32 exec_lo, exec_lo, s3
.LBB7_41:
	s_or_b32 exec_lo, exec_lo, s1
	v_bfrev_b32_e32 v2, 1
	s_mov_b32 s1, exec_lo
.LBB7_42:                               ; =>This Inner Loop Header: Depth=1
	s_ff1_i32_b32 s3, s1
	s_waitcnt lgkmcnt(0)
	v_readlane_b32 s4, v8, s3
	s_lshl_b32 s3, 1, s3
	s_andn2_b32 s1, s1, s3
	s_cmp_lg_u32 s1, 0
	v_add_f32_e32 v2, s4, v2
	s_cbranch_scc1 .LBB7_42
; %bb.43:
	v_mbcnt_lo_u32_b32 v0, exec_lo, 0
	s_mov_b32 s1, 0
	s_mov_b32 s3, exec_lo
	v_cmpx_eq_u32_e32 0, v0
	s_xor_b32 s3, exec_lo, s3
	s_cbranch_execz .LBB7_47
; %bb.44:
	v_mov_b32_e32 v3, 0
	global_load_dword v1, v3, s[8:9]
.LBB7_45:                               ; =>This Inner Loop Header: Depth=1
	s_waitcnt vmcnt(0)
	v_add_f32_e32 v0, v1, v2
	global_atomic_cmpswap v0, v3, v[0:1], s[8:9] glc
	s_waitcnt vmcnt(0)
	v_cmp_eq_u32_e32 vcc_lo, v0, v1
	v_mov_b32_e32 v1, v0
	s_or_b32 s1, vcc_lo, s1
	s_andn2_b32 exec_lo, exec_lo, s1
	s_cbranch_execnz .LBB7_45
; %bb.46:
	s_or_b32 exec_lo, exec_lo, s1
.LBB7_47:
	s_or_b32 exec_lo, exec_lo, s0
	s_andn2_b32 s7, s7, exec_lo
	s_or_b32 exec_lo, exec_lo, s2
	s_mov_b32 s0, 0
	s_and_saveexec_b32 s1, s7
	s_cbranch_execz .LBB7_3
.LBB7_48:
	s_mov_b32 s0, exec_lo
	s_trap 2
	s_or_b32 exec_lo, exec_lo, s1
	s_and_saveexec_b32 s1, s6
	s_cbranch_execz .LBB7_4
.LBB7_49:
	s_or_b32 s0, s0, exec_lo
	s_trap 2
	s_or_b32 exec_lo, exec_lo, s1
	s_and_saveexec_b32 s1, s0
	s_cbranch_execz .LBB7_5
.LBB7_50:
	; divergent unreachable
	s_endpgm
	.section	.rodata,"a",@progbits
	.p2align	6, 0x0
	.amdhsa_kernel _ZN2at6native12_GLOBAL__N_125nll_loss2d_forward_kernelIffiEEvPT_S4_PKS3_PKlS6_iiil
		.amdhsa_group_segment_fixed_size 8192
		.amdhsa_private_segment_fixed_size 0
		.amdhsa_kernarg_size 320
		.amdhsa_user_sgpr_count 6
		.amdhsa_user_sgpr_private_segment_buffer 1
		.amdhsa_user_sgpr_dispatch_ptr 0
		.amdhsa_user_sgpr_queue_ptr 0
		.amdhsa_user_sgpr_kernarg_segment_ptr 1
		.amdhsa_user_sgpr_dispatch_id 0
		.amdhsa_user_sgpr_flat_scratch_init 0
		.amdhsa_user_sgpr_private_segment_size 0
		.amdhsa_wavefront_size32 1
		.amdhsa_uses_dynamic_stack 0
		.amdhsa_system_sgpr_private_segment_wavefront_offset 0
		.amdhsa_system_sgpr_workgroup_id_x 1
		.amdhsa_system_sgpr_workgroup_id_y 0
		.amdhsa_system_sgpr_workgroup_id_z 0
		.amdhsa_system_sgpr_workgroup_info 0
		.amdhsa_system_vgpr_workitem_id 0
		.amdhsa_next_free_vgpr 12
		.amdhsa_next_free_sgpr 28
		.amdhsa_reserve_vcc 1
		.amdhsa_reserve_flat_scratch 0
		.amdhsa_float_round_mode_32 0
		.amdhsa_float_round_mode_16_64 0
		.amdhsa_float_denorm_mode_32 3
		.amdhsa_float_denorm_mode_16_64 3
		.amdhsa_dx10_clamp 1
		.amdhsa_ieee_mode 1
		.amdhsa_fp16_overflow 0
		.amdhsa_workgroup_processor_mode 1
		.amdhsa_memory_ordered 1
		.amdhsa_forward_progress 1
		.amdhsa_shared_vgpr_count 0
		.amdhsa_exception_fp_ieee_invalid_op 0
		.amdhsa_exception_fp_denorm_src 0
		.amdhsa_exception_fp_ieee_div_zero 0
		.amdhsa_exception_fp_ieee_overflow 0
		.amdhsa_exception_fp_ieee_underflow 0
		.amdhsa_exception_fp_ieee_inexact 0
		.amdhsa_exception_int_div_zero 0
	.end_amdhsa_kernel
	.section	.text._ZN2at6native12_GLOBAL__N_125nll_loss2d_forward_kernelIffiEEvPT_S4_PKS3_PKlS6_iiil,"axG",@progbits,_ZN2at6native12_GLOBAL__N_125nll_loss2d_forward_kernelIffiEEvPT_S4_PKS3_PKlS6_iiil,comdat
.Lfunc_end7:
	.size	_ZN2at6native12_GLOBAL__N_125nll_loss2d_forward_kernelIffiEEvPT_S4_PKS3_PKlS6_iiil, .Lfunc_end7-_ZN2at6native12_GLOBAL__N_125nll_loss2d_forward_kernelIffiEEvPT_S4_PKS3_PKlS6_iiil
                                        ; -- End function
	.set _ZN2at6native12_GLOBAL__N_125nll_loss2d_forward_kernelIffiEEvPT_S4_PKS3_PKlS6_iiil.num_vgpr, 12
	.set _ZN2at6native12_GLOBAL__N_125nll_loss2d_forward_kernelIffiEEvPT_S4_PKS3_PKlS6_iiil.num_agpr, 0
	.set _ZN2at6native12_GLOBAL__N_125nll_loss2d_forward_kernelIffiEEvPT_S4_PKS3_PKlS6_iiil.numbered_sgpr, 28
	.set _ZN2at6native12_GLOBAL__N_125nll_loss2d_forward_kernelIffiEEvPT_S4_PKS3_PKlS6_iiil.num_named_barrier, 0
	.set _ZN2at6native12_GLOBAL__N_125nll_loss2d_forward_kernelIffiEEvPT_S4_PKS3_PKlS6_iiil.private_seg_size, 0
	.set _ZN2at6native12_GLOBAL__N_125nll_loss2d_forward_kernelIffiEEvPT_S4_PKS3_PKlS6_iiil.uses_vcc, 1
	.set _ZN2at6native12_GLOBAL__N_125nll_loss2d_forward_kernelIffiEEvPT_S4_PKS3_PKlS6_iiil.uses_flat_scratch, 0
	.set _ZN2at6native12_GLOBAL__N_125nll_loss2d_forward_kernelIffiEEvPT_S4_PKS3_PKlS6_iiil.has_dyn_sized_stack, 0
	.set _ZN2at6native12_GLOBAL__N_125nll_loss2d_forward_kernelIffiEEvPT_S4_PKS3_PKlS6_iiil.has_recursion, 0
	.set _ZN2at6native12_GLOBAL__N_125nll_loss2d_forward_kernelIffiEEvPT_S4_PKS3_PKlS6_iiil.has_indirect_call, 0
	.section	.AMDGPU.csdata,"",@progbits
; Kernel info:
; codeLenInByte = 1724
; TotalNumSgprs: 30
; NumVgprs: 12
; ScratchSize: 0
; MemoryBound: 0
; FloatMode: 240
; IeeeMode: 1
; LDSByteSize: 8192 bytes/workgroup (compile time only)
; SGPRBlocks: 0
; VGPRBlocks: 1
; NumSGPRsForWavesPerEU: 30
; NumVGPRsForWavesPerEU: 12
; Occupancy: 16
; WaveLimiterHint : 1
; COMPUTE_PGM_RSRC2:SCRATCH_EN: 0
; COMPUTE_PGM_RSRC2:USER_SGPR: 6
; COMPUTE_PGM_RSRC2:TRAP_HANDLER: 0
; COMPUTE_PGM_RSRC2:TGID_X_EN: 1
; COMPUTE_PGM_RSRC2:TGID_Y_EN: 0
; COMPUTE_PGM_RSRC2:TGID_Z_EN: 0
; COMPUTE_PGM_RSRC2:TIDIG_COMP_CNT: 0
	.section	.text._ZN2at6native12_GLOBAL__N_138nll_loss2d_forward_size_average_kernelIfEEvPT_PKS3_,"axG",@progbits,_ZN2at6native12_GLOBAL__N_138nll_loss2d_forward_size_average_kernelIfEEvPT_PKS3_,comdat
	.globl	_ZN2at6native12_GLOBAL__N_138nll_loss2d_forward_size_average_kernelIfEEvPT_PKS3_ ; -- Begin function _ZN2at6native12_GLOBAL__N_138nll_loss2d_forward_size_average_kernelIfEEvPT_PKS3_
	.p2align	8
	.type	_ZN2at6native12_GLOBAL__N_138nll_loss2d_forward_size_average_kernelIfEEvPT_PKS3_,@function
_ZN2at6native12_GLOBAL__N_138nll_loss2d_forward_size_average_kernelIfEEvPT_PKS3_: ; @_ZN2at6native12_GLOBAL__N_138nll_loss2d_forward_size_average_kernelIfEEvPT_PKS3_
; %bb.0:
	s_load_dwordx4 s[0:3], s[4:5], 0x0
	s_waitcnt lgkmcnt(0)
	s_load_dword s2, s[2:3], 0x0
	s_load_dword s3, s[0:1], 0x0
	s_waitcnt lgkmcnt(0)
	v_div_scale_f32 v0, null, s2, s2, s3
	v_rcp_f32_e32 v1, v0
	v_fma_f32 v2, -v0, v1, 1.0
	v_fmac_f32_e32 v1, v2, v1
	v_div_scale_f32 v2, vcc_lo, s3, s2, s3
	v_mul_f32_e32 v3, v2, v1
	v_fma_f32 v4, -v0, v3, v2
	v_fmac_f32_e32 v3, v4, v1
	v_fma_f32 v0, -v0, v3, v2
	v_div_fmas_f32 v0, v0, v1, v3
	v_mov_b32_e32 v1, 0
	v_div_fixup_f32 v0, v0, s2, s3
	global_store_dword v1, v0, s[0:1]
	s_endpgm
	.section	.rodata,"a",@progbits
	.p2align	6, 0x0
	.amdhsa_kernel _ZN2at6native12_GLOBAL__N_138nll_loss2d_forward_size_average_kernelIfEEvPT_PKS3_
		.amdhsa_group_segment_fixed_size 0
		.amdhsa_private_segment_fixed_size 0
		.amdhsa_kernarg_size 16
		.amdhsa_user_sgpr_count 6
		.amdhsa_user_sgpr_private_segment_buffer 1
		.amdhsa_user_sgpr_dispatch_ptr 0
		.amdhsa_user_sgpr_queue_ptr 0
		.amdhsa_user_sgpr_kernarg_segment_ptr 1
		.amdhsa_user_sgpr_dispatch_id 0
		.amdhsa_user_sgpr_flat_scratch_init 0
		.amdhsa_user_sgpr_private_segment_size 0
		.amdhsa_wavefront_size32 1
		.amdhsa_uses_dynamic_stack 0
		.amdhsa_system_sgpr_private_segment_wavefront_offset 0
		.amdhsa_system_sgpr_workgroup_id_x 1
		.amdhsa_system_sgpr_workgroup_id_y 0
		.amdhsa_system_sgpr_workgroup_id_z 0
		.amdhsa_system_sgpr_workgroup_info 0
		.amdhsa_system_vgpr_workitem_id 0
		.amdhsa_next_free_vgpr 5
		.amdhsa_next_free_sgpr 6
		.amdhsa_reserve_vcc 1
		.amdhsa_reserve_flat_scratch 0
		.amdhsa_float_round_mode_32 0
		.amdhsa_float_round_mode_16_64 0
		.amdhsa_float_denorm_mode_32 3
		.amdhsa_float_denorm_mode_16_64 3
		.amdhsa_dx10_clamp 1
		.amdhsa_ieee_mode 1
		.amdhsa_fp16_overflow 0
		.amdhsa_workgroup_processor_mode 1
		.amdhsa_memory_ordered 1
		.amdhsa_forward_progress 1
		.amdhsa_shared_vgpr_count 0
		.amdhsa_exception_fp_ieee_invalid_op 0
		.amdhsa_exception_fp_denorm_src 0
		.amdhsa_exception_fp_ieee_div_zero 0
		.amdhsa_exception_fp_ieee_overflow 0
		.amdhsa_exception_fp_ieee_underflow 0
		.amdhsa_exception_fp_ieee_inexact 0
		.amdhsa_exception_int_div_zero 0
	.end_amdhsa_kernel
	.section	.text._ZN2at6native12_GLOBAL__N_138nll_loss2d_forward_size_average_kernelIfEEvPT_PKS3_,"axG",@progbits,_ZN2at6native12_GLOBAL__N_138nll_loss2d_forward_size_average_kernelIfEEvPT_PKS3_,comdat
.Lfunc_end8:
	.size	_ZN2at6native12_GLOBAL__N_138nll_loss2d_forward_size_average_kernelIfEEvPT_PKS3_, .Lfunc_end8-_ZN2at6native12_GLOBAL__N_138nll_loss2d_forward_size_average_kernelIfEEvPT_PKS3_
                                        ; -- End function
	.set _ZN2at6native12_GLOBAL__N_138nll_loss2d_forward_size_average_kernelIfEEvPT_PKS3_.num_vgpr, 5
	.set _ZN2at6native12_GLOBAL__N_138nll_loss2d_forward_size_average_kernelIfEEvPT_PKS3_.num_agpr, 0
	.set _ZN2at6native12_GLOBAL__N_138nll_loss2d_forward_size_average_kernelIfEEvPT_PKS3_.numbered_sgpr, 6
	.set _ZN2at6native12_GLOBAL__N_138nll_loss2d_forward_size_average_kernelIfEEvPT_PKS3_.num_named_barrier, 0
	.set _ZN2at6native12_GLOBAL__N_138nll_loss2d_forward_size_average_kernelIfEEvPT_PKS3_.private_seg_size, 0
	.set _ZN2at6native12_GLOBAL__N_138nll_loss2d_forward_size_average_kernelIfEEvPT_PKS3_.uses_vcc, 1
	.set _ZN2at6native12_GLOBAL__N_138nll_loss2d_forward_size_average_kernelIfEEvPT_PKS3_.uses_flat_scratch, 0
	.set _ZN2at6native12_GLOBAL__N_138nll_loss2d_forward_size_average_kernelIfEEvPT_PKS3_.has_dyn_sized_stack, 0
	.set _ZN2at6native12_GLOBAL__N_138nll_loss2d_forward_size_average_kernelIfEEvPT_PKS3_.has_recursion, 0
	.set _ZN2at6native12_GLOBAL__N_138nll_loss2d_forward_size_average_kernelIfEEvPT_PKS3_.has_indirect_call, 0
	.section	.AMDGPU.csdata,"",@progbits
; Kernel info:
; codeLenInByte = 120
; TotalNumSgprs: 8
; NumVgprs: 5
; ScratchSize: 0
; MemoryBound: 0
; FloatMode: 240
; IeeeMode: 1
; LDSByteSize: 0 bytes/workgroup (compile time only)
; SGPRBlocks: 0
; VGPRBlocks: 0
; NumSGPRsForWavesPerEU: 8
; NumVGPRsForWavesPerEU: 5
; Occupancy: 16
; WaveLimiterHint : 0
; COMPUTE_PGM_RSRC2:SCRATCH_EN: 0
; COMPUTE_PGM_RSRC2:USER_SGPR: 6
; COMPUTE_PGM_RSRC2:TRAP_HANDLER: 0
; COMPUTE_PGM_RSRC2:TGID_X_EN: 1
; COMPUTE_PGM_RSRC2:TGID_Y_EN: 0
; COMPUTE_PGM_RSRC2:TGID_Z_EN: 0
; COMPUTE_PGM_RSRC2:TIDIG_COMP_CNT: 0
	.section	.text._ZN2at6native12_GLOBAL__N_125nll_loss2d_forward_kernelIfflEEvPT_S4_PKS3_PKlS6_iiil,"axG",@progbits,_ZN2at6native12_GLOBAL__N_125nll_loss2d_forward_kernelIfflEEvPT_S4_PKS3_PKlS6_iiil,comdat
	.globl	_ZN2at6native12_GLOBAL__N_125nll_loss2d_forward_kernelIfflEEvPT_S4_PKS3_PKlS6_iiil ; -- Begin function _ZN2at6native12_GLOBAL__N_125nll_loss2d_forward_kernelIfflEEvPT_S4_PKS3_PKlS6_iiil
	.p2align	8
	.type	_ZN2at6native12_GLOBAL__N_125nll_loss2d_forward_kernelIfflEEvPT_S4_PKS3_PKlS6_iiil,@function
_ZN2at6native12_GLOBAL__N_125nll_loss2d_forward_kernelIfflEEvPT_S4_PKS3_PKlS6_iiil: ; @_ZN2at6native12_GLOBAL__N_125nll_loss2d_forward_kernelIfflEEvPT_S4_PKS3_PKlS6_iiil
; %bb.0:
	s_clause 0x2
	s_load_dwordx4 s[16:19], s[4:5], 0x28
	s_load_dwordx2 s[2:3], s[4:5], 0x20
	s_load_dword s7, s[4:5], 0x4c
	v_mov_b32_e32 v4, 0
	s_mov_b32 s20, -1
	s_waitcnt lgkmcnt(0)
	v_cvt_f32_u32_e32 v1, s18
	s_sub_i32 s1, 0, s18
	v_rcp_iflag_f32_e32 v1, v1
	v_mul_f32_e32 v1, 0x4f7ffffe, v1
	v_cvt_u32_f32_e32 v1, v1
	v_readfirstlane_b32 s0, v1
	s_mul_i32 s1, s1, s0
	s_mul_hi_u32 s1, s0, s1
	s_add_i32 s0, s0, s1
	s_mul_hi_u32 s0, s6, s0
	s_mul_i32 s1, s0, s18
	s_add_i32 s8, s0, 1
	s_sub_i32 s1, s6, s1
	s_sub_i32 s9, s1, s18
	s_cmp_ge_u32 s1, s18
	s_cselect_b32 s0, s8, s0
	s_cselect_b32 s1, s9, s1
	s_load_dwordx8 s[8:15], s[4:5], 0x0
	s_add_i32 s19, s0, 1
	s_cmp_ge_u32 s1, s18
	s_cselect_b32 s0, s19, s0
	s_and_b32 s1, s7, 0xffff
	s_mul_i32 s19, s0, s18
	s_mov_b32 s7, 0
	s_sub_i32 s6, s6, s19
	s_mov_b32 s19, exec_lo
	v_mad_u64_u32 v[1:2], null, s6, s1, v[0:1]
	v_mov_b32_e32 v2, 0
	s_mov_b32 s6, 0
	v_cmpx_gt_i32_e64 s17, v1
	s_cbranch_execnz .LBB9_6
; %bb.1:
	s_or_b32 exec_lo, exec_lo, s19
	s_and_saveexec_b32 s0, s20
	s_xor_b32 s2, exec_lo, s0
	s_cbranch_execnz .LBB9_22
.LBB9_2:
	s_or_b32 exec_lo, exec_lo, s2
	s_mov_b32 s0, 0
	s_and_saveexec_b32 s1, s7
	s_cbranch_execnz .LBB9_48
.LBB9_3:
	s_or_b32 exec_lo, exec_lo, s1
	s_and_saveexec_b32 s1, s6
	s_cbranch_execnz .LBB9_49
.LBB9_4:
	s_or_b32 exec_lo, exec_lo, s1
	s_and_saveexec_b32 s1, s0
	s_cbranch_execnz .LBB9_50
.LBB9_5:
	s_endpgm
.LBB9_6:
	s_load_dwordx2 s[4:5], s[4:5], 0x38
	s_ashr_i32 s20, s17, 31
	v_ashrrev_i32_e32 v2, 31, v1
	s_mul_hi_u32 s6, s0, s17
	s_mul_i32 s7, s0, s20
	s_mul_i32 s22, s0, s17
	s_mov_b32 s21, s17
	s_add_i32 s23, s6, s7
	s_ashr_i32 s17, s16, 31
	s_cmp_lg_u64 s[2:3], 0
	v_lshlrev_b64 v[4:5], 3, v[1:2]
	v_mad_u64_u32 v[2:3], null, s22, s16, v[1:2]
	s_mul_i32 s6, s18, s1
	s_cselect_b32 s18, -1, 0
	s_lshl_b64 s[24:25], s[22:23], 3
	v_mov_b32_e32 v10, 0
	s_waitcnt lgkmcnt(0)
	s_add_u32 s0, s14, s24
	s_addc_u32 s7, s15, s25
	v_add_co_u32 v4, vcc_lo, s0, v4
	s_mul_i32 s0, s22, s17
	s_mul_i32 s14, s23, s16
	v_add_co_ci_u32_e64 v5, null, s7, v5, vcc_lo
	v_add3_u32 v3, s0, s14, v3
	v_mov_b32_e32 v11, 0
	s_ashr_i32 s7, s6, 31
	s_mov_b32 s24, 0
	s_lshl_b64 s[14:15], s[6:7], 3
                                        ; implicit-def: $sgpr23
                                        ; implicit-def: $sgpr22
	s_branch .LBB9_8
.LBB9_7:                                ;   in Loop: Header=BB9_8 Depth=1
	s_or_b32 exec_lo, exec_lo, s25
	s_xor_b32 s0, s27, -1
	s_xor_b32 s25, s26, -1
	s_and_b32 s26, exec_lo, s28
	s_or_b32 s24, s26, s24
	s_andn2_b32 s22, s22, exec_lo
	s_and_b32 s0, s0, exec_lo
	s_andn2_b32 s23, s23, exec_lo
	s_and_b32 s25, s25, exec_lo
	s_or_b32 s22, s22, s0
	s_or_b32 s23, s23, s25
	s_andn2_b32 exec_lo, exec_lo, s24
	s_cbranch_execz .LBB9_19
.LBB9_8:                                ; =>This Inner Loop Header: Depth=1
	global_load_dwordx2 v[6:7], v[4:5], off
	s_mov_b32 s0, -1
	s_mov_b32 s25, exec_lo
                                        ; implicit-def: $sgpr26
                                        ; implicit-def: $sgpr27
	s_waitcnt vmcnt(0)
	v_cmpx_ne_u64_e64 s[4:5], v[6:7]
	s_cbranch_execz .LBB9_17
; %bb.9:                                ;   in Loop: Header=BB9_8 Depth=1
	v_cmp_lt_i64_e32 vcc_lo, -1, v[6:7]
	v_cmp_gt_i64_e64 s0, s[16:17], v[6:7]
	s_mov_b32 s26, -1
	s_mov_b32 s28, 0
	s_mov_b32 s27, 0
	s_and_b32 s29, vcc_lo, s0
	s_and_saveexec_b32 s0, s29
	s_cbranch_execz .LBB9_16
; %bb.10:                               ;   in Loop: Header=BB9_8 Depth=1
	s_andn2_b32 vcc_lo, exec_lo, s18
	s_cbranch_vccnz .LBB9_12
; %bb.11:                               ;   in Loop: Header=BB9_8 Depth=1
	v_lshlrev_b64 v[8:9], 2, v[6:7]
	v_add_co_u32 v8, vcc_lo, s2, v8
	v_add_co_ci_u32_e64 v9, null, s3, v9, vcc_lo
	global_load_dword v12, v[8:9], off
	s_branch .LBB9_13
.LBB9_12:                               ;   in Loop: Header=BB9_8 Depth=1
	v_mov_b32_e32 v12, 1.0
.LBB9_13:                               ;   in Loop: Header=BB9_8 Depth=1
	v_mad_u64_u32 v[8:9], null, v6, s21, v[2:3]
	v_mul_lo_u32 v6, v6, s20
	v_mul_lo_u32 v7, v7, s21
	s_mov_b32 s26, exec_lo
	v_add3_u32 v9, v7, v9, v6
	v_cmpx_lt_i64_e32 -1, v[8:9]
	s_cbranch_execz .LBB9_15
; %bb.14:                               ;   in Loop: Header=BB9_8 Depth=1
	v_lshlrev_b64 v[6:7], 2, v[8:9]
	s_waitcnt vmcnt(0)
	v_add_f32_e32 v11, v11, v12
	s_mov_b32 s28, exec_lo
	v_add_co_u32 v6, vcc_lo, s12, v6
	v_add_co_ci_u32_e64 v7, null, s13, v7, vcc_lo
	global_load_dword v6, v[6:7], off
	s_waitcnt vmcnt(0)
	v_fma_f32 v10, -v12, v6, v10
.LBB9_15:                               ;   in Loop: Header=BB9_8 Depth=1
	s_or_b32 exec_lo, exec_lo, s26
	s_mov_b32 s27, exec_lo
	s_xor_b32 s26, exec_lo, -1
	s_and_b32 s28, s28, exec_lo
.LBB9_16:                               ;   in Loop: Header=BB9_8 Depth=1
	s_or_b32 exec_lo, exec_lo, s0
	s_orn2_b32 s0, s28, exec_lo
.LBB9_17:                               ;   in Loop: Header=BB9_8 Depth=1
	s_or_b32 exec_lo, exec_lo, s25
	s_mov_b32 s28, -1
	s_and_saveexec_b32 s25, s0
	s_cbranch_execz .LBB9_7
; %bb.18:                               ;   in Loop: Header=BB9_8 Depth=1
	v_add_nc_u32_e32 v1, s6, v1
	v_add_co_u32 v4, vcc_lo, v4, s14
	v_add_co_ci_u32_e64 v5, null, s15, v5, vcc_lo
	v_cmp_le_i32_e32 vcc_lo, s21, v1
	v_add_co_u32 v2, s0, v2, s6
	v_add_co_ci_u32_e64 v3, null, s7, v3, s0
	s_andn2_b32 s27, s27, exec_lo
	s_andn2_b32 s26, s26, exec_lo
	s_orn2_b32 s28, vcc_lo, exec_lo
	s_branch .LBB9_7
.LBB9_19:
	s_or_b32 exec_lo, exec_lo, s24
	v_mov_b32_e32 v2, 0
	v_mov_b32_e32 v4, 0
	s_mov_b32 s2, 0
	s_mov_b32 s4, -1
	s_mov_b32 s0, 0
	s_and_saveexec_b32 s3, s23
	s_xor_b32 s3, exec_lo, s3
; %bb.20:
	v_mov_b32_e32 v2, v10
	v_mov_b32_e32 v4, v11
	s_mov_b32 s0, exec_lo
	s_xor_b32 s4, exec_lo, -1
	s_and_b32 s2, s22, exec_lo
; %bb.21:
	s_or_b32 exec_lo, exec_lo, s3
	s_and_b32 s6, s4, exec_lo
	s_and_b32 s7, s0, exec_lo
	s_orn2_b32 s20, s2, exec_lo
	s_or_b32 exec_lo, exec_lo, s19
	s_and_saveexec_b32 s0, s20
	s_xor_b32 s2, exec_lo, s0
	s_cbranch_execz .LBB9_2
.LBB9_22:
	v_mbcnt_lo_u32_b32 v6, -1, 0
	v_and_b32_e32 v9, 31, v0
	s_waitcnt vmcnt(0) lgkmcnt(0)
	s_barrier
	buffer_gl0_inv
	v_lshl_or_b32 v1, v6, 2, 64
	v_cmp_gt_u32_e32 vcc_lo, 24, v6
	ds_bpermute_b32 v5, v1, v4
	v_cndmask_b32_e64 v3, 0, 8, vcc_lo
	v_cmp_gt_u32_e32 vcc_lo, 28, v6
	v_add_lshl_u32 v3, v3, v6, 2
	s_waitcnt lgkmcnt(0)
	v_add_f32_e32 v5, v4, v5
	v_cndmask_b32_e64 v4, 0, 4, vcc_lo
	v_cmp_gt_u32_e32 vcc_lo, 30, v6
	ds_bpermute_b32 v7, v3, v5
	v_add_lshl_u32 v4, v4, v6, 2
	s_waitcnt lgkmcnt(0)
	v_add_f32_e32 v7, v5, v7
	v_cndmask_b32_e64 v5, 0, 2, vcc_lo
	v_cmp_ne_u32_e32 vcc_lo, 31, v6
	ds_bpermute_b32 v8, v4, v7
	v_add_lshl_u32 v5, v5, v6, 2
	v_add_co_ci_u32_e64 v6, null, 0, v6, vcc_lo
	v_cmp_eq_u32_e32 vcc_lo, 0, v9
	v_lshlrev_b32_e32 v6, 2, v6
	s_waitcnt lgkmcnt(0)
	v_add_f32_e32 v7, v7, v8
	ds_bpermute_b32 v8, v5, v7
	s_waitcnt lgkmcnt(0)
	v_add_f32_e32 v7, v7, v8
	v_lshrrev_b32_e32 v8, 3, v0
	ds_bpermute_b32 v10, v6, v7
	s_and_saveexec_b32 s0, vcc_lo
	s_cbranch_execz .LBB9_24
; %bb.23:
	s_waitcnt lgkmcnt(0)
	v_add_f32_e32 v7, v7, v10
	ds_write_b32 v8, v7 offset:4096
.LBB9_24:
	s_or_b32 exec_lo, exec_lo, s0
	s_lshr_b32 s0, s1, 5
	v_mov_b32_e32 v7, 0
	v_cmp_gt_u32_e64 s0, s0, v0
	v_lshlrev_b32_e32 v9, 2, v9
	s_waitcnt lgkmcnt(0)
	s_barrier
	buffer_gl0_inv
	s_and_saveexec_b32 s1, s0
; %bb.25:
	ds_read_b32 v7, v9 offset:4096
; %bb.26:
	s_or_b32 exec_lo, exec_lo, s1
	v_cmp_gt_u32_e64 s1, 32, v0
	s_and_saveexec_b32 s3, s1
	s_cbranch_execz .LBB9_28
; %bb.27:
	s_waitcnt lgkmcnt(0)
	ds_bpermute_b32 v10, v1, v7
	s_waitcnt lgkmcnt(0)
	v_add_f32_e32 v7, v7, v10
	ds_bpermute_b32 v10, v3, v7
	s_waitcnt lgkmcnt(0)
	v_add_f32_e32 v7, v7, v10
	;; [unrolled: 3-line block ×5, first 2 shown]
.LBB9_28:
	s_or_b32 exec_lo, exec_lo, s3
	ds_bpermute_b32 v10, v1, v2
	s_waitcnt lgkmcnt(0)
	s_barrier
	buffer_gl0_inv
	v_add_f32_e32 v2, v2, v10
	ds_bpermute_b32 v10, v3, v2
	s_waitcnt lgkmcnt(0)
	v_add_f32_e32 v2, v2, v10
	ds_bpermute_b32 v10, v4, v2
	s_waitcnt lgkmcnt(0)
	;; [unrolled: 3-line block ×3, first 2 shown]
	v_add_f32_e32 v2, v2, v10
	ds_bpermute_b32 v10, v6, v2
	s_and_saveexec_b32 s3, vcc_lo
	s_cbranch_execz .LBB9_30
; %bb.29:
	s_waitcnt lgkmcnt(0)
	v_add_f32_e32 v2, v2, v10
	ds_write_b32 v8, v2
.LBB9_30:
	s_or_b32 exec_lo, exec_lo, s3
	v_mov_b32_e32 v2, 0
	s_waitcnt lgkmcnt(0)
	s_barrier
	buffer_gl0_inv
	s_and_saveexec_b32 s3, s0
; %bb.31:
	ds_read_b32 v2, v9
; %bb.32:
	s_or_b32 exec_lo, exec_lo, s3
	s_and_saveexec_b32 s0, s1
	s_cbranch_execz .LBB9_34
; %bb.33:
	s_waitcnt lgkmcnt(0)
	ds_bpermute_b32 v1, v1, v2
	s_waitcnt lgkmcnt(0)
	v_add_f32_e32 v1, v2, v1
	ds_bpermute_b32 v2, v3, v1
	s_waitcnt lgkmcnt(0)
	v_add_f32_e32 v1, v1, v2
	;; [unrolled: 3-line block ×5, first 2 shown]
.LBB9_34:
	s_or_b32 exec_lo, exec_lo, s0
	s_mov_b32 s0, exec_lo
	v_cmpx_eq_u32_e32 0, v0
	s_cbranch_execz .LBB9_47
; %bb.35:
	v_bfrev_b32_e32 v3, 1
	s_mov_b32 s1, exec_lo
.LBB9_36:                               ; =>This Inner Loop Header: Depth=1
	s_ff1_i32_b32 s3, s1
	v_readlane_b32 s4, v7, s3
	s_lshl_b32 s3, 1, s3
	s_andn2_b32 s1, s1, s3
	s_cmp_lg_u32 s1, 0
	v_add_f32_e32 v3, s4, v3
	s_cbranch_scc1 .LBB9_36
; %bb.37:
	v_mbcnt_lo_u32_b32 v0, exec_lo, 0
	s_mov_b32 s3, 0
	s_mov_b32 s1, exec_lo
	v_cmpx_eq_u32_e32 0, v0
	s_xor_b32 s1, exec_lo, s1
	s_cbranch_execz .LBB9_41
; %bb.38:
	s_load_dword s4, s[10:11], 0x0
	v_mov_b32_e32 v4, 0
	s_waitcnt lgkmcnt(0)
	v_mov_b32_e32 v1, s4
.LBB9_39:                               ; =>This Inner Loop Header: Depth=1
	v_add_f32_e32 v0, v1, v3
	global_atomic_cmpswap v0, v4, v[0:1], s[10:11] glc
	s_waitcnt vmcnt(0)
	v_cmp_eq_u32_e32 vcc_lo, v0, v1
	v_mov_b32_e32 v1, v0
	s_or_b32 s3, vcc_lo, s3
	s_andn2_b32 exec_lo, exec_lo, s3
	s_cbranch_execnz .LBB9_39
; %bb.40:
	s_or_b32 exec_lo, exec_lo, s3
.LBB9_41:
	s_or_b32 exec_lo, exec_lo, s1
	v_bfrev_b32_e32 v3, 1
	s_mov_b32 s1, exec_lo
.LBB9_42:                               ; =>This Inner Loop Header: Depth=1
	s_ff1_i32_b32 s3, s1
	s_waitcnt lgkmcnt(0)
	v_readlane_b32 s4, v2, s3
	s_lshl_b32 s3, 1, s3
	s_andn2_b32 s1, s1, s3
	s_cmp_lg_u32 s1, 0
	v_add_f32_e32 v3, s4, v3
	s_cbranch_scc1 .LBB9_42
; %bb.43:
	v_mbcnt_lo_u32_b32 v0, exec_lo, 0
	s_mov_b32 s1, 0
	s_mov_b32 s3, exec_lo
	v_cmpx_eq_u32_e32 0, v0
	s_xor_b32 s3, exec_lo, s3
	s_cbranch_execz .LBB9_47
; %bb.44:
	v_mov_b32_e32 v2, 0
	global_load_dword v1, v2, s[8:9]
.LBB9_45:                               ; =>This Inner Loop Header: Depth=1
	s_waitcnt vmcnt(0)
	v_add_f32_e32 v0, v1, v3
	global_atomic_cmpswap v0, v2, v[0:1], s[8:9] glc
	s_waitcnt vmcnt(0)
	v_cmp_eq_u32_e32 vcc_lo, v0, v1
	v_mov_b32_e32 v1, v0
	s_or_b32 s1, vcc_lo, s1
	s_andn2_b32 exec_lo, exec_lo, s1
	s_cbranch_execnz .LBB9_45
; %bb.46:
	s_or_b32 exec_lo, exec_lo, s1
.LBB9_47:
	s_or_b32 exec_lo, exec_lo, s0
	s_andn2_b32 s7, s7, exec_lo
	s_or_b32 exec_lo, exec_lo, s2
	s_mov_b32 s0, 0
	s_and_saveexec_b32 s1, s7
	s_cbranch_execz .LBB9_3
.LBB9_48:
	s_mov_b32 s0, exec_lo
	s_trap 2
	s_or_b32 exec_lo, exec_lo, s1
	s_and_saveexec_b32 s1, s6
	s_cbranch_execz .LBB9_4
.LBB9_49:
	s_or_b32 s0, s0, exec_lo
	s_trap 2
	s_or_b32 exec_lo, exec_lo, s1
	s_and_saveexec_b32 s1, s0
	s_cbranch_execz .LBB9_5
.LBB9_50:
	; divergent unreachable
	s_endpgm
	.section	.rodata,"a",@progbits
	.p2align	6, 0x0
	.amdhsa_kernel _ZN2at6native12_GLOBAL__N_125nll_loss2d_forward_kernelIfflEEvPT_S4_PKS3_PKlS6_iiil
		.amdhsa_group_segment_fixed_size 8192
		.amdhsa_private_segment_fixed_size 0
		.amdhsa_kernarg_size 320
		.amdhsa_user_sgpr_count 6
		.amdhsa_user_sgpr_private_segment_buffer 1
		.amdhsa_user_sgpr_dispatch_ptr 0
		.amdhsa_user_sgpr_queue_ptr 0
		.amdhsa_user_sgpr_kernarg_segment_ptr 1
		.amdhsa_user_sgpr_dispatch_id 0
		.amdhsa_user_sgpr_flat_scratch_init 0
		.amdhsa_user_sgpr_private_segment_size 0
		.amdhsa_wavefront_size32 1
		.amdhsa_uses_dynamic_stack 0
		.amdhsa_system_sgpr_private_segment_wavefront_offset 0
		.amdhsa_system_sgpr_workgroup_id_x 1
		.amdhsa_system_sgpr_workgroup_id_y 0
		.amdhsa_system_sgpr_workgroup_id_z 0
		.amdhsa_system_sgpr_workgroup_info 0
		.amdhsa_system_vgpr_workitem_id 0
		.amdhsa_next_free_vgpr 13
		.amdhsa_next_free_sgpr 30
		.amdhsa_reserve_vcc 1
		.amdhsa_reserve_flat_scratch 0
		.amdhsa_float_round_mode_32 0
		.amdhsa_float_round_mode_16_64 0
		.amdhsa_float_denorm_mode_32 3
		.amdhsa_float_denorm_mode_16_64 3
		.amdhsa_dx10_clamp 1
		.amdhsa_ieee_mode 1
		.amdhsa_fp16_overflow 0
		.amdhsa_workgroup_processor_mode 1
		.amdhsa_memory_ordered 1
		.amdhsa_forward_progress 1
		.amdhsa_shared_vgpr_count 0
		.amdhsa_exception_fp_ieee_invalid_op 0
		.amdhsa_exception_fp_denorm_src 0
		.amdhsa_exception_fp_ieee_div_zero 0
		.amdhsa_exception_fp_ieee_overflow 0
		.amdhsa_exception_fp_ieee_underflow 0
		.amdhsa_exception_fp_ieee_inexact 0
		.amdhsa_exception_int_div_zero 0
	.end_amdhsa_kernel
	.section	.text._ZN2at6native12_GLOBAL__N_125nll_loss2d_forward_kernelIfflEEvPT_S4_PKS3_PKlS6_iiil,"axG",@progbits,_ZN2at6native12_GLOBAL__N_125nll_loss2d_forward_kernelIfflEEvPT_S4_PKS3_PKlS6_iiil,comdat
.Lfunc_end9:
	.size	_ZN2at6native12_GLOBAL__N_125nll_loss2d_forward_kernelIfflEEvPT_S4_PKS3_PKlS6_iiil, .Lfunc_end9-_ZN2at6native12_GLOBAL__N_125nll_loss2d_forward_kernelIfflEEvPT_S4_PKS3_PKlS6_iiil
                                        ; -- End function
	.set _ZN2at6native12_GLOBAL__N_125nll_loss2d_forward_kernelIfflEEvPT_S4_PKS3_PKlS6_iiil.num_vgpr, 13
	.set _ZN2at6native12_GLOBAL__N_125nll_loss2d_forward_kernelIfflEEvPT_S4_PKS3_PKlS6_iiil.num_agpr, 0
	.set _ZN2at6native12_GLOBAL__N_125nll_loss2d_forward_kernelIfflEEvPT_S4_PKS3_PKlS6_iiil.numbered_sgpr, 30
	.set _ZN2at6native12_GLOBAL__N_125nll_loss2d_forward_kernelIfflEEvPT_S4_PKS3_PKlS6_iiil.num_named_barrier, 0
	.set _ZN2at6native12_GLOBAL__N_125nll_loss2d_forward_kernelIfflEEvPT_S4_PKS3_PKlS6_iiil.private_seg_size, 0
	.set _ZN2at6native12_GLOBAL__N_125nll_loss2d_forward_kernelIfflEEvPT_S4_PKS3_PKlS6_iiil.uses_vcc, 1
	.set _ZN2at6native12_GLOBAL__N_125nll_loss2d_forward_kernelIfflEEvPT_S4_PKS3_PKlS6_iiil.uses_flat_scratch, 0
	.set _ZN2at6native12_GLOBAL__N_125nll_loss2d_forward_kernelIfflEEvPT_S4_PKS3_PKlS6_iiil.has_dyn_sized_stack, 0
	.set _ZN2at6native12_GLOBAL__N_125nll_loss2d_forward_kernelIfflEEvPT_S4_PKS3_PKlS6_iiil.has_recursion, 0
	.set _ZN2at6native12_GLOBAL__N_125nll_loss2d_forward_kernelIfflEEvPT_S4_PKS3_PKlS6_iiil.has_indirect_call, 0
	.section	.AMDGPU.csdata,"",@progbits
; Kernel info:
; codeLenInByte = 1792
; TotalNumSgprs: 32
; NumVgprs: 13
; ScratchSize: 0
; MemoryBound: 0
; FloatMode: 240
; IeeeMode: 1
; LDSByteSize: 8192 bytes/workgroup (compile time only)
; SGPRBlocks: 0
; VGPRBlocks: 1
; NumSGPRsForWavesPerEU: 32
; NumVGPRsForWavesPerEU: 13
; Occupancy: 16
; WaveLimiterHint : 1
; COMPUTE_PGM_RSRC2:SCRATCH_EN: 0
; COMPUTE_PGM_RSRC2:USER_SGPR: 6
; COMPUTE_PGM_RSRC2:TRAP_HANDLER: 0
; COMPUTE_PGM_RSRC2:TGID_X_EN: 1
; COMPUTE_PGM_RSRC2:TGID_Y_EN: 0
; COMPUTE_PGM_RSRC2:TGID_Z_EN: 0
; COMPUTE_PGM_RSRC2:TIDIG_COMP_CNT: 0
	.section	.text._ZN2at6native12_GLOBAL__N_125nll_loss2d_forward_kernelIN3c104HalfEfiEEvPT_S6_PKS5_PKlS8_iiil,"axG",@progbits,_ZN2at6native12_GLOBAL__N_125nll_loss2d_forward_kernelIN3c104HalfEfiEEvPT_S6_PKS5_PKlS8_iiil,comdat
	.globl	_ZN2at6native12_GLOBAL__N_125nll_loss2d_forward_kernelIN3c104HalfEfiEEvPT_S6_PKS5_PKlS8_iiil ; -- Begin function _ZN2at6native12_GLOBAL__N_125nll_loss2d_forward_kernelIN3c104HalfEfiEEvPT_S6_PKS5_PKlS8_iiil
	.p2align	8
	.type	_ZN2at6native12_GLOBAL__N_125nll_loss2d_forward_kernelIN3c104HalfEfiEEvPT_S6_PKS5_PKlS8_iiil,@function
_ZN2at6native12_GLOBAL__N_125nll_loss2d_forward_kernelIN3c104HalfEfiEEvPT_S6_PKS5_PKlS8_iiil: ; @_ZN2at6native12_GLOBAL__N_125nll_loss2d_forward_kernelIN3c104HalfEfiEEvPT_S6_PKS5_PKlS8_iiil
; %bb.0:
	s_clause 0x2
	s_load_dwordx4 s[16:19], s[4:5], 0x28
	s_load_dwordx2 s[2:3], s[4:5], 0x20
	s_load_dword s7, s[4:5], 0x4c
	v_mov_b32_e32 v4, 0
	s_mov_b32 s21, -1
	s_waitcnt lgkmcnt(0)
	v_cvt_f32_u32_e32 v1, s18
	s_sub_i32 s1, 0, s18
	v_rcp_iflag_f32_e32 v1, v1
	v_mul_f32_e32 v1, 0x4f7ffffe, v1
	v_cvt_u32_f32_e32 v1, v1
	v_readfirstlane_b32 s0, v1
	v_mov_b32_e32 v1, 0
	s_mul_i32 s1, s1, s0
	s_mul_hi_u32 s1, s0, s1
	s_add_i32 s0, s0, s1
	s_mul_hi_u32 s0, s6, s0
	s_mul_i32 s1, s0, s18
	s_add_i32 s8, s0, 1
	s_sub_i32 s1, s6, s1
	s_sub_i32 s9, s1, s18
	s_cmp_ge_u32 s1, s18
	s_cselect_b32 s0, s8, s0
	s_cselect_b32 s1, s9, s1
	s_load_dwordx8 s[8:15], s[4:5], 0x0
	s_add_i32 s19, s0, 1
	s_cmp_ge_u32 s1, s18
	s_cselect_b32 s0, s19, s0
	s_and_b32 s1, s7, 0xffff
	s_mul_i32 s19, s0, s18
	s_mov_b32 s7, 0
	s_sub_i32 s20, s6, s19
	s_mov_b32 s6, 0
	s_mul_i32 s20, s20, s1
	s_mov_b32 s19, exec_lo
	v_add_nc_u32_e32 v7, s20, v0
	v_cmpx_gt_i32_e64 s17, v7
	s_cbranch_execnz .LBB10_6
; %bb.1:
	s_or_b32 exec_lo, exec_lo, s19
	s_and_saveexec_b32 s0, s21
	s_waitcnt lgkmcnt(0)
	s_xor_b32 s12, exec_lo, s0
	s_cbranch_execnz .LBB10_22
.LBB10_2:
	s_or_b32 exec_lo, exec_lo, s12
	s_mov_b32 s0, 0
	s_and_saveexec_b32 s1, s7
	s_cbranch_execnz .LBB10_48
.LBB10_3:
	s_or_b32 exec_lo, exec_lo, s1
	s_and_saveexec_b32 s1, s6
	s_cbranch_execnz .LBB10_49
.LBB10_4:
	s_or_b32 exec_lo, exec_lo, s1
	s_and_saveexec_b32 s1, s0
	s_cbranch_execnz .LBB10_50
.LBB10_5:
	s_endpgm
.LBB10_6:
	s_mul_i32 s21, s0, s17
	s_load_dwordx2 s[4:5], s[4:5], 0x38
	v_add3_u32 v3, s20, s21, v0
	s_mul_i32 s6, s18, s1
	s_cmp_lg_u64 s[2:3], 0
	v_mov_b32_e32 v2, 0
	v_mov_b32_e32 v8, 0
	v_ashrrev_i32_e32 v4, 31, v3
	v_mov_b32_e32 v9, 0
	s_cselect_b32 s20, -1, 0
	s_ashr_i32 s7, s6, 31
	s_mul_i32 s21, s21, s16
	v_lshlrev_b64 v[3:4], 3, v[3:4]
	s_mov_b32 s22, 0
                                        ; implicit-def: $sgpr18
	s_waitcnt lgkmcnt(0)
	v_add_co_u32 v3, vcc_lo, s14, v3
	v_add_co_ci_u32_e64 v4, null, s15, v4, vcc_lo
	s_lshl_b64 s[14:15], s[6:7], 3
                                        ; implicit-def: $sgpr7
	s_branch .LBB10_8
.LBB10_7:                               ;   in Loop: Header=BB10_8 Depth=1
	s_or_b32 exec_lo, exec_lo, s26
	s_xor_b32 s0, s25, -1
	s_xor_b32 s24, s24, -1
	s_and_b32 s23, exec_lo, s23
	s_or_b32 s22, s23, s22
	s_andn2_b32 s7, s7, exec_lo
	s_and_b32 s0, s0, exec_lo
	s_andn2_b32 s18, s18, exec_lo
	s_and_b32 s23, s24, exec_lo
	s_or_b32 s7, s7, s0
	s_or_b32 s18, s18, s23
	s_andn2_b32 exec_lo, exec_lo, s22
	s_cbranch_execz .LBB10_19
.LBB10_8:                               ; =>This Inner Loop Header: Depth=1
	global_load_dwordx2 v[5:6], v[3:4], off
	s_mov_b32 s0, -1
	s_mov_b32 s23, exec_lo
                                        ; implicit-def: $sgpr24
                                        ; implicit-def: $sgpr25
	s_waitcnt vmcnt(0)
	v_ashrrev_i32_e32 v6, 31, v5
	v_cmpx_ne_u64_e64 s[4:5], v[5:6]
	s_cbranch_execz .LBB10_17
; %bb.9:                                ;   in Loop: Header=BB10_8 Depth=1
	v_cmp_lt_i32_e32 vcc_lo, -1, v5
	v_cmp_gt_i32_e64 s0, s16, v5
	s_mov_b32 s24, -1
	s_mov_b32 s26, 0
	s_mov_b32 s25, 0
	s_and_b32 s27, vcc_lo, s0
	s_and_saveexec_b32 s0, s27
	s_cbranch_execz .LBB10_16
; %bb.10:                               ;   in Loop: Header=BB10_8 Depth=1
	s_andn2_b32 vcc_lo, exec_lo, s20
	s_cbranch_vccnz .LBB10_12
; %bb.11:                               ;   in Loop: Header=BB10_8 Depth=1
	v_lshlrev_b64 v[10:11], 1, v[5:6]
	v_add_co_u32 v10, vcc_lo, s2, v10
	v_add_co_ci_u32_e64 v11, null, s3, v11, vcc_lo
	global_load_ushort v6, v[10:11], off
	s_branch .LBB10_13
.LBB10_12:                              ;   in Loop: Header=BB10_8 Depth=1
	v_mov_b32_e32 v6, 0x3c00
.LBB10_13:                              ;   in Loop: Header=BB10_8 Depth=1
	v_mul_lo_u32 v1, s17, v5
	s_mov_b32 s24, exec_lo
	v_add3_u32 v1, s21, v7, v1
	v_cmpx_lt_i32_e32 -1, v1
	s_cbranch_execz .LBB10_15
; %bb.14:                               ;   in Loop: Header=BB10_8 Depth=1
	v_lshlrev_b64 v[10:11], 1, v[1:2]
	s_waitcnt vmcnt(0)
	v_cvt_f32_f16_e32 v5, v6
	s_mov_b32 s26, exec_lo
	v_add_f32_e32 v9, v9, v5
	v_add_co_u32 v10, vcc_lo, s12, v10
	v_add_co_ci_u32_e64 v11, null, s13, v11, vcc_lo
	global_load_ushort v1, v[10:11], off
	s_waitcnt vmcnt(0)
	v_mul_f16_e32 v1, v6, v1
	v_cvt_f32_f16_e32 v1, v1
	v_sub_f32_e32 v8, v8, v1
.LBB10_15:                              ;   in Loop: Header=BB10_8 Depth=1
	s_or_b32 exec_lo, exec_lo, s24
	s_mov_b32 s25, exec_lo
	s_xor_b32 s24, exec_lo, -1
	s_and_b32 s26, s26, exec_lo
.LBB10_16:                              ;   in Loop: Header=BB10_8 Depth=1
	s_or_b32 exec_lo, exec_lo, s0
	s_orn2_b32 s0, s26, exec_lo
.LBB10_17:                              ;   in Loop: Header=BB10_8 Depth=1
	s_or_b32 exec_lo, exec_lo, s23
	s_mov_b32 s23, -1
	s_and_saveexec_b32 s26, s0
	s_cbranch_execz .LBB10_7
; %bb.18:                               ;   in Loop: Header=BB10_8 Depth=1
	v_add_nc_u32_e32 v7, s6, v7
	v_add_co_u32 v3, s0, v3, s14
	v_add_co_ci_u32_e64 v4, null, s15, v4, s0
	v_cmp_le_i32_e32 vcc_lo, s17, v7
	s_andn2_b32 s25, s25, exec_lo
	s_andn2_b32 s24, s24, exec_lo
	s_orn2_b32 s23, vcc_lo, exec_lo
	s_branch .LBB10_7
.LBB10_19:
	s_or_b32 exec_lo, exec_lo, s22
	v_mov_b32_e32 v1, 0
	v_mov_b32_e32 v4, 0
	s_mov_b32 s2, 0
	s_mov_b32 s4, -1
	s_mov_b32 s0, 0
	s_and_saveexec_b32 s3, s18
	s_xor_b32 s3, exec_lo, s3
; %bb.20:
	v_mov_b32_e32 v1, v8
	v_mov_b32_e32 v4, v9
	s_mov_b32 s0, exec_lo
	s_xor_b32 s4, exec_lo, -1
	s_and_b32 s2, s7, exec_lo
; %bb.21:
	s_or_b32 exec_lo, exec_lo, s3
	s_and_b32 s6, s4, exec_lo
	s_and_b32 s7, s0, exec_lo
	s_orn2_b32 s21, s2, exec_lo
	s_or_b32 exec_lo, exec_lo, s19
	s_and_saveexec_b32 s0, s21
	s_xor_b32 s12, exec_lo, s0
	s_cbranch_execz .LBB10_2
.LBB10_22:
	v_mbcnt_lo_u32_b32 v5, -1, 0
	v_and_b32_e32 v9, 31, v0
	s_waitcnt vmcnt(0)
	s_barrier
	buffer_gl0_inv
	v_lshl_or_b32 v2, v5, 2, 64
	v_cmp_gt_u32_e32 vcc_lo, 24, v5
	ds_bpermute_b32 v6, v2, v4
	v_cndmask_b32_e64 v3, 0, 8, vcc_lo
	v_cmp_gt_u32_e32 vcc_lo, 28, v5
	v_add_lshl_u32 v3, v3, v5, 2
	s_waitcnt lgkmcnt(0)
	v_add_f32_e32 v6, v4, v6
	v_cndmask_b32_e64 v4, 0, 4, vcc_lo
	v_cmp_gt_u32_e32 vcc_lo, 30, v5
	ds_bpermute_b32 v7, v3, v6
	v_add_lshl_u32 v4, v4, v5, 2
	s_waitcnt lgkmcnt(0)
	v_add_f32_e32 v7, v6, v7
	v_cndmask_b32_e64 v6, 0, 2, vcc_lo
	v_cmp_ne_u32_e32 vcc_lo, 31, v5
	ds_bpermute_b32 v8, v4, v7
	v_add_lshl_u32 v6, v6, v5, 2
	v_add_co_ci_u32_e64 v5, null, 0, v5, vcc_lo
	v_cmp_eq_u32_e32 vcc_lo, 0, v9
	s_waitcnt lgkmcnt(0)
	v_add_f32_e32 v7, v7, v8
	ds_bpermute_b32 v8, v6, v7
	s_waitcnt lgkmcnt(0)
	v_add_f32_e32 v8, v7, v8
	v_lshlrev_b32_e32 v7, 2, v5
	v_lshrrev_b32_e32 v5, 3, v0
	ds_bpermute_b32 v10, v7, v8
	s_and_saveexec_b32 s0, vcc_lo
	s_cbranch_execz .LBB10_24
; %bb.23:
	s_waitcnt lgkmcnt(0)
	v_add_f32_e32 v8, v8, v10
	ds_write_b32 v5, v8 offset:4096
.LBB10_24:
	s_or_b32 exec_lo, exec_lo, s0
	s_lshr_b32 s0, s1, 5
	v_mov_b32_e32 v8, 0
	v_cmp_gt_u32_e64 s0, s0, v0
	v_lshlrev_b32_e32 v9, 2, v9
	s_waitcnt lgkmcnt(0)
	s_barrier
	buffer_gl0_inv
	s_and_saveexec_b32 s1, s0
; %bb.25:
	ds_read_b32 v8, v9 offset:4096
; %bb.26:
	s_or_b32 exec_lo, exec_lo, s1
	v_cmp_gt_u32_e64 s1, 32, v0
	s_and_saveexec_b32 s2, s1
	s_cbranch_execz .LBB10_28
; %bb.27:
	s_waitcnt lgkmcnt(0)
	ds_bpermute_b32 v10, v2, v8
	s_waitcnt lgkmcnt(0)
	v_add_f32_e32 v8, v8, v10
	ds_bpermute_b32 v10, v3, v8
	s_waitcnt lgkmcnt(0)
	v_add_f32_e32 v8, v8, v10
	;; [unrolled: 3-line block ×5, first 2 shown]
.LBB10_28:
	s_or_b32 exec_lo, exec_lo, s2
	ds_bpermute_b32 v10, v2, v1
	s_waitcnt lgkmcnt(0)
	s_barrier
	buffer_gl0_inv
	v_add_f32_e32 v1, v1, v10
	ds_bpermute_b32 v10, v3, v1
	s_waitcnt lgkmcnt(0)
	v_add_f32_e32 v1, v1, v10
	ds_bpermute_b32 v10, v4, v1
	s_waitcnt lgkmcnt(0)
	;; [unrolled: 3-line block ×3, first 2 shown]
	v_add_f32_e32 v1, v1, v10
	ds_bpermute_b32 v10, v7, v1
	s_and_saveexec_b32 s2, vcc_lo
	s_cbranch_execz .LBB10_30
; %bb.29:
	s_waitcnt lgkmcnt(0)
	v_add_f32_e32 v1, v1, v10
	ds_write_b32 v5, v1
.LBB10_30:
	s_or_b32 exec_lo, exec_lo, s2
	v_mov_b32_e32 v5, 0
	s_waitcnt lgkmcnt(0)
	s_barrier
	buffer_gl0_inv
	s_and_saveexec_b32 s2, s0
; %bb.31:
	ds_read_b32 v5, v9
; %bb.32:
	s_or_b32 exec_lo, exec_lo, s2
	s_and_saveexec_b32 s0, s1
	s_cbranch_execz .LBB10_34
; %bb.33:
	s_waitcnt lgkmcnt(0)
	ds_bpermute_b32 v1, v2, v5
	s_waitcnt lgkmcnt(0)
	v_add_f32_e32 v1, v5, v1
	ds_bpermute_b32 v2, v3, v1
	s_waitcnt lgkmcnt(0)
	v_add_f32_e32 v1, v1, v2
	;; [unrolled: 3-line block ×5, first 2 shown]
.LBB10_34:
	s_or_b32 exec_lo, exec_lo, s0
	s_mov_b32 s3, 0
	s_mov_b32 s1, exec_lo
	v_cmpx_eq_u32_e32 0, v0
	s_cbranch_execz .LBB10_47
; %bb.35:
	s_and_b32 s2, s10, 2
	v_cvt_f16_f32_e32 v2, v8
	s_sub_u32 s0, 0, s2
	s_subb_u32 s5, 0, 0
	s_add_u32 s4, s10, s0
	s_addc_u32 s5, s11, s5
	s_cmp_eq_u64 s[2:3], 0
	s_load_dword s10, s[4:5], 0x0
	v_mov_b32_e32 v3, 0
	s_cselect_b32 s0, -1, 0
	s_cmp_lg_u32 s2, 0
	s_cselect_b32 s2, -1, 0
	s_waitcnt lgkmcnt(0)
	v_mov_b32_e32 v1, s10
	s_inst_prefetch 0x1
	s_branch .LBB10_37
	.p2align	6
.LBB10_36:                              ;   in Loop: Header=BB10_37 Depth=1
	global_atomic_cmpswap v0, v3, v[0:1], s[4:5] glc
	s_waitcnt vmcnt(0)
	v_cmp_eq_u32_e32 vcc_lo, v1, v0
	v_mov_b32_e32 v1, v0
	s_or_b32 s3, vcc_lo, s3
	s_andn2_b32 exec_lo, exec_lo, s3
	s_cbranch_execz .LBB10_41
.LBB10_37:                              ; =>This Inner Loop Header: Depth=1
	s_mov_b32 vcc_lo, s0
	s_mov_b32 s10, -1
	v_cndmask_b32_sdwa v0, v1, v1, vcc_lo dst_sel:DWORD dst_unused:UNUSED_PAD src0_sel:WORD_1 src1_sel:DWORD
	s_andn2_b32 vcc_lo, exec_lo, s2
	v_add_f16_e32 v0, v2, v0
	v_and_b32_e32 v4, 0xffff, v0
	s_cbranch_vccnz .LBB10_39
; %bb.38:                               ;   in Loop: Header=BB10_37 Depth=1
	v_and_b32_e32 v0, 0xffff, v1
	s_mov_b32 s10, 0
	v_lshl_or_b32 v0, v4, 16, v0
.LBB10_39:                              ;   in Loop: Header=BB10_37 Depth=1
	s_andn2_b32 vcc_lo, exec_lo, s10
	s_cbranch_vccnz .LBB10_36
; %bb.40:                               ;   in Loop: Header=BB10_37 Depth=1
	v_and_or_b32 v0, 0xffff0000, v1, v4
	s_branch .LBB10_36
.LBB10_41:
	s_inst_prefetch 0x2
	s_or_b32 exec_lo, exec_lo, s3
	s_and_b32 s2, s8, 2
	v_mov_b32_e32 v2, 0
	s_sub_u32 s0, 0, s2
	s_subb_u32 s3, 0, 0
	s_add_u32 s4, s8, s0
	s_addc_u32 s5, s9, s3
	s_mov_b32 s3, 0
	global_load_dword v1, v2, s[4:5]
	s_cmp_eq_u64 s[2:3], 0
	v_cvt_f16_f32_e32 v3, v5
	s_cselect_b32 s0, -1, 0
	s_cmp_lg_u32 s2, 0
	s_cselect_b32 s2, -1, 0
	s_inst_prefetch 0x1
	s_branch .LBB10_43
	.p2align	6
.LBB10_42:                              ;   in Loop: Header=BB10_43 Depth=1
	global_atomic_cmpswap v0, v2, v[0:1], s[4:5] glc
	s_waitcnt vmcnt(0)
	v_cmp_eq_u32_e32 vcc_lo, v1, v0
	v_mov_b32_e32 v1, v0
	s_or_b32 s3, vcc_lo, s3
	s_andn2_b32 exec_lo, exec_lo, s3
	s_cbranch_execz .LBB10_47
.LBB10_43:                              ; =>This Inner Loop Header: Depth=1
	s_mov_b32 vcc_lo, s0
	s_mov_b32 s8, -1
	s_waitcnt vmcnt(0)
	v_cndmask_b32_sdwa v0, v1, v1, vcc_lo dst_sel:DWORD dst_unused:UNUSED_PAD src0_sel:WORD_1 src1_sel:DWORD
	s_andn2_b32 vcc_lo, exec_lo, s2
	v_add_f16_e32 v0, v3, v0
	v_and_b32_e32 v4, 0xffff, v0
	s_cbranch_vccnz .LBB10_45
; %bb.44:                               ;   in Loop: Header=BB10_43 Depth=1
	v_and_b32_e32 v0, 0xffff, v1
	s_mov_b32 s8, 0
	v_lshl_or_b32 v0, v4, 16, v0
.LBB10_45:                              ;   in Loop: Header=BB10_43 Depth=1
	s_andn2_b32 vcc_lo, exec_lo, s8
	s_cbranch_vccnz .LBB10_42
; %bb.46:                               ;   in Loop: Header=BB10_43 Depth=1
	v_and_or_b32 v0, 0xffff0000, v1, v4
	s_branch .LBB10_42
.LBB10_47:
	s_inst_prefetch 0x2
	s_or_b32 exec_lo, exec_lo, s1
	s_andn2_b32 s7, s7, exec_lo
	s_or_b32 exec_lo, exec_lo, s12
	s_mov_b32 s0, 0
	s_and_saveexec_b32 s1, s7
	s_cbranch_execz .LBB10_3
.LBB10_48:
	s_mov_b32 s0, exec_lo
	s_trap 2
	s_or_b32 exec_lo, exec_lo, s1
	s_and_saveexec_b32 s1, s6
	s_cbranch_execz .LBB10_4
.LBB10_49:
	s_or_b32 s0, s0, exec_lo
	s_trap 2
	s_or_b32 exec_lo, exec_lo, s1
	s_and_saveexec_b32 s1, s0
	s_cbranch_execz .LBB10_5
.LBB10_50:
	; divergent unreachable
	s_endpgm
	.section	.rodata,"a",@progbits
	.p2align	6, 0x0
	.amdhsa_kernel _ZN2at6native12_GLOBAL__N_125nll_loss2d_forward_kernelIN3c104HalfEfiEEvPT_S6_PKS5_PKlS8_iiil
		.amdhsa_group_segment_fixed_size 8192
		.amdhsa_private_segment_fixed_size 0
		.amdhsa_kernarg_size 320
		.amdhsa_user_sgpr_count 6
		.amdhsa_user_sgpr_private_segment_buffer 1
		.amdhsa_user_sgpr_dispatch_ptr 0
		.amdhsa_user_sgpr_queue_ptr 0
		.amdhsa_user_sgpr_kernarg_segment_ptr 1
		.amdhsa_user_sgpr_dispatch_id 0
		.amdhsa_user_sgpr_flat_scratch_init 0
		.amdhsa_user_sgpr_private_segment_size 0
		.amdhsa_wavefront_size32 1
		.amdhsa_uses_dynamic_stack 0
		.amdhsa_system_sgpr_private_segment_wavefront_offset 0
		.amdhsa_system_sgpr_workgroup_id_x 1
		.amdhsa_system_sgpr_workgroup_id_y 0
		.amdhsa_system_sgpr_workgroup_id_z 0
		.amdhsa_system_sgpr_workgroup_info 0
		.amdhsa_system_vgpr_workitem_id 0
		.amdhsa_next_free_vgpr 12
		.amdhsa_next_free_sgpr 28
		.amdhsa_reserve_vcc 1
		.amdhsa_reserve_flat_scratch 0
		.amdhsa_float_round_mode_32 0
		.amdhsa_float_round_mode_16_64 0
		.amdhsa_float_denorm_mode_32 3
		.amdhsa_float_denorm_mode_16_64 3
		.amdhsa_dx10_clamp 1
		.amdhsa_ieee_mode 1
		.amdhsa_fp16_overflow 0
		.amdhsa_workgroup_processor_mode 1
		.amdhsa_memory_ordered 1
		.amdhsa_forward_progress 1
		.amdhsa_shared_vgpr_count 0
		.amdhsa_exception_fp_ieee_invalid_op 0
		.amdhsa_exception_fp_denorm_src 0
		.amdhsa_exception_fp_ieee_div_zero 0
		.amdhsa_exception_fp_ieee_overflow 0
		.amdhsa_exception_fp_ieee_underflow 0
		.amdhsa_exception_fp_ieee_inexact 0
		.amdhsa_exception_int_div_zero 0
	.end_amdhsa_kernel
	.section	.text._ZN2at6native12_GLOBAL__N_125nll_loss2d_forward_kernelIN3c104HalfEfiEEvPT_S6_PKS5_PKlS8_iiil,"axG",@progbits,_ZN2at6native12_GLOBAL__N_125nll_loss2d_forward_kernelIN3c104HalfEfiEEvPT_S6_PKS5_PKlS8_iiil,comdat
.Lfunc_end10:
	.size	_ZN2at6native12_GLOBAL__N_125nll_loss2d_forward_kernelIN3c104HalfEfiEEvPT_S6_PKS5_PKlS8_iiil, .Lfunc_end10-_ZN2at6native12_GLOBAL__N_125nll_loss2d_forward_kernelIN3c104HalfEfiEEvPT_S6_PKS5_PKlS8_iiil
                                        ; -- End function
	.set _ZN2at6native12_GLOBAL__N_125nll_loss2d_forward_kernelIN3c104HalfEfiEEvPT_S6_PKS5_PKlS8_iiil.num_vgpr, 12
	.set _ZN2at6native12_GLOBAL__N_125nll_loss2d_forward_kernelIN3c104HalfEfiEEvPT_S6_PKS5_PKlS8_iiil.num_agpr, 0
	.set _ZN2at6native12_GLOBAL__N_125nll_loss2d_forward_kernelIN3c104HalfEfiEEvPT_S6_PKS5_PKlS8_iiil.numbered_sgpr, 28
	.set _ZN2at6native12_GLOBAL__N_125nll_loss2d_forward_kernelIN3c104HalfEfiEEvPT_S6_PKS5_PKlS8_iiil.num_named_barrier, 0
	.set _ZN2at6native12_GLOBAL__N_125nll_loss2d_forward_kernelIN3c104HalfEfiEEvPT_S6_PKS5_PKlS8_iiil.private_seg_size, 0
	.set _ZN2at6native12_GLOBAL__N_125nll_loss2d_forward_kernelIN3c104HalfEfiEEvPT_S6_PKS5_PKlS8_iiil.uses_vcc, 1
	.set _ZN2at6native12_GLOBAL__N_125nll_loss2d_forward_kernelIN3c104HalfEfiEEvPT_S6_PKS5_PKlS8_iiil.uses_flat_scratch, 0
	.set _ZN2at6native12_GLOBAL__N_125nll_loss2d_forward_kernelIN3c104HalfEfiEEvPT_S6_PKS5_PKlS8_iiil.has_dyn_sized_stack, 0
	.set _ZN2at6native12_GLOBAL__N_125nll_loss2d_forward_kernelIN3c104HalfEfiEEvPT_S6_PKS5_PKlS8_iiil.has_recursion, 0
	.set _ZN2at6native12_GLOBAL__N_125nll_loss2d_forward_kernelIN3c104HalfEfiEEvPT_S6_PKS5_PKlS8_iiil.has_indirect_call, 0
	.section	.AMDGPU.csdata,"",@progbits
; Kernel info:
; codeLenInByte = 1916
; TotalNumSgprs: 30
; NumVgprs: 12
; ScratchSize: 0
; MemoryBound: 0
; FloatMode: 240
; IeeeMode: 1
; LDSByteSize: 8192 bytes/workgroup (compile time only)
; SGPRBlocks: 0
; VGPRBlocks: 1
; NumSGPRsForWavesPerEU: 30
; NumVGPRsForWavesPerEU: 12
; Occupancy: 16
; WaveLimiterHint : 1
; COMPUTE_PGM_RSRC2:SCRATCH_EN: 0
; COMPUTE_PGM_RSRC2:USER_SGPR: 6
; COMPUTE_PGM_RSRC2:TRAP_HANDLER: 0
; COMPUTE_PGM_RSRC2:TGID_X_EN: 1
; COMPUTE_PGM_RSRC2:TGID_Y_EN: 0
; COMPUTE_PGM_RSRC2:TGID_Z_EN: 0
; COMPUTE_PGM_RSRC2:TIDIG_COMP_CNT: 0
	.section	.text._ZN2at6native12_GLOBAL__N_138nll_loss2d_forward_size_average_kernelIN3c104HalfEEEvPT_PKS5_,"axG",@progbits,_ZN2at6native12_GLOBAL__N_138nll_loss2d_forward_size_average_kernelIN3c104HalfEEEvPT_PKS5_,comdat
	.globl	_ZN2at6native12_GLOBAL__N_138nll_loss2d_forward_size_average_kernelIN3c104HalfEEEvPT_PKS5_ ; -- Begin function _ZN2at6native12_GLOBAL__N_138nll_loss2d_forward_size_average_kernelIN3c104HalfEEEvPT_PKS5_
	.p2align	8
	.type	_ZN2at6native12_GLOBAL__N_138nll_loss2d_forward_size_average_kernelIN3c104HalfEEEvPT_PKS5_,@function
_ZN2at6native12_GLOBAL__N_138nll_loss2d_forward_size_average_kernelIN3c104HalfEEEvPT_PKS5_: ; @_ZN2at6native12_GLOBAL__N_138nll_loss2d_forward_size_average_kernelIN3c104HalfEEEvPT_PKS5_
; %bb.0:
	s_load_dwordx4 s[0:3], s[4:5], 0x0
	v_mov_b32_e32 v0, 0
	s_waitcnt lgkmcnt(0)
	s_clause 0x1
	global_load_ushort v1, v0, s[2:3]
	global_load_ushort v2, v0, s[0:1]
	s_waitcnt vmcnt(1)
	v_cvt_f32_f16_e32 v3, v1
	s_waitcnt vmcnt(0)
	v_cvt_f32_f16_e32 v4, v2
	v_rcp_f32_e32 v3, v3
	v_mul_f32_e32 v4, v4, v3
	v_fma_mix_f32 v5, -v1, v4, v2 op_sel_hi:[1,0,1]
	v_fmac_f32_e32 v4, v5, v3
	v_fma_mix_f32 v5, -v1, v4, v2 op_sel_hi:[1,0,1]
	v_mul_f32_e32 v3, v5, v3
	v_and_b32_e32 v3, 0xff800000, v3
	v_add_f32_e32 v3, v3, v4
	v_cvt_f16_f32_e32 v3, v3
	v_div_fixup_f16 v1, v3, v1, v2
	global_store_short v0, v1, s[0:1]
	s_endpgm
	.section	.rodata,"a",@progbits
	.p2align	6, 0x0
	.amdhsa_kernel _ZN2at6native12_GLOBAL__N_138nll_loss2d_forward_size_average_kernelIN3c104HalfEEEvPT_PKS5_
		.amdhsa_group_segment_fixed_size 0
		.amdhsa_private_segment_fixed_size 0
		.amdhsa_kernarg_size 16
		.amdhsa_user_sgpr_count 6
		.amdhsa_user_sgpr_private_segment_buffer 1
		.amdhsa_user_sgpr_dispatch_ptr 0
		.amdhsa_user_sgpr_queue_ptr 0
		.amdhsa_user_sgpr_kernarg_segment_ptr 1
		.amdhsa_user_sgpr_dispatch_id 0
		.amdhsa_user_sgpr_flat_scratch_init 0
		.amdhsa_user_sgpr_private_segment_size 0
		.amdhsa_wavefront_size32 1
		.amdhsa_uses_dynamic_stack 0
		.amdhsa_system_sgpr_private_segment_wavefront_offset 0
		.amdhsa_system_sgpr_workgroup_id_x 1
		.amdhsa_system_sgpr_workgroup_id_y 0
		.amdhsa_system_sgpr_workgroup_id_z 0
		.amdhsa_system_sgpr_workgroup_info 0
		.amdhsa_system_vgpr_workitem_id 0
		.amdhsa_next_free_vgpr 6
		.amdhsa_next_free_sgpr 6
		.amdhsa_reserve_vcc 0
		.amdhsa_reserve_flat_scratch 0
		.amdhsa_float_round_mode_32 0
		.amdhsa_float_round_mode_16_64 0
		.amdhsa_float_denorm_mode_32 3
		.amdhsa_float_denorm_mode_16_64 3
		.amdhsa_dx10_clamp 1
		.amdhsa_ieee_mode 1
		.amdhsa_fp16_overflow 0
		.amdhsa_workgroup_processor_mode 1
		.amdhsa_memory_ordered 1
		.amdhsa_forward_progress 1
		.amdhsa_shared_vgpr_count 0
		.amdhsa_exception_fp_ieee_invalid_op 0
		.amdhsa_exception_fp_denorm_src 0
		.amdhsa_exception_fp_ieee_div_zero 0
		.amdhsa_exception_fp_ieee_overflow 0
		.amdhsa_exception_fp_ieee_underflow 0
		.amdhsa_exception_fp_ieee_inexact 0
		.amdhsa_exception_int_div_zero 0
	.end_amdhsa_kernel
	.section	.text._ZN2at6native12_GLOBAL__N_138nll_loss2d_forward_size_average_kernelIN3c104HalfEEEvPT_PKS5_,"axG",@progbits,_ZN2at6native12_GLOBAL__N_138nll_loss2d_forward_size_average_kernelIN3c104HalfEEEvPT_PKS5_,comdat
.Lfunc_end11:
	.size	_ZN2at6native12_GLOBAL__N_138nll_loss2d_forward_size_average_kernelIN3c104HalfEEEvPT_PKS5_, .Lfunc_end11-_ZN2at6native12_GLOBAL__N_138nll_loss2d_forward_size_average_kernelIN3c104HalfEEEvPT_PKS5_
                                        ; -- End function
	.set _ZN2at6native12_GLOBAL__N_138nll_loss2d_forward_size_average_kernelIN3c104HalfEEEvPT_PKS5_.num_vgpr, 6
	.set _ZN2at6native12_GLOBAL__N_138nll_loss2d_forward_size_average_kernelIN3c104HalfEEEvPT_PKS5_.num_agpr, 0
	.set _ZN2at6native12_GLOBAL__N_138nll_loss2d_forward_size_average_kernelIN3c104HalfEEEvPT_PKS5_.numbered_sgpr, 6
	.set _ZN2at6native12_GLOBAL__N_138nll_loss2d_forward_size_average_kernelIN3c104HalfEEEvPT_PKS5_.num_named_barrier, 0
	.set _ZN2at6native12_GLOBAL__N_138nll_loss2d_forward_size_average_kernelIN3c104HalfEEEvPT_PKS5_.private_seg_size, 0
	.set _ZN2at6native12_GLOBAL__N_138nll_loss2d_forward_size_average_kernelIN3c104HalfEEEvPT_PKS5_.uses_vcc, 0
	.set _ZN2at6native12_GLOBAL__N_138nll_loss2d_forward_size_average_kernelIN3c104HalfEEEvPT_PKS5_.uses_flat_scratch, 0
	.set _ZN2at6native12_GLOBAL__N_138nll_loss2d_forward_size_average_kernelIN3c104HalfEEEvPT_PKS5_.has_dyn_sized_stack, 0
	.set _ZN2at6native12_GLOBAL__N_138nll_loss2d_forward_size_average_kernelIN3c104HalfEEEvPT_PKS5_.has_recursion, 0
	.set _ZN2at6native12_GLOBAL__N_138nll_loss2d_forward_size_average_kernelIN3c104HalfEEEvPT_PKS5_.has_indirect_call, 0
	.section	.AMDGPU.csdata,"",@progbits
; Kernel info:
; codeLenInByte = 120
; TotalNumSgprs: 6
; NumVgprs: 6
; ScratchSize: 0
; MemoryBound: 0
; FloatMode: 240
; IeeeMode: 1
; LDSByteSize: 0 bytes/workgroup (compile time only)
; SGPRBlocks: 0
; VGPRBlocks: 0
; NumSGPRsForWavesPerEU: 6
; NumVGPRsForWavesPerEU: 6
; Occupancy: 16
; WaveLimiterHint : 0
; COMPUTE_PGM_RSRC2:SCRATCH_EN: 0
; COMPUTE_PGM_RSRC2:USER_SGPR: 6
; COMPUTE_PGM_RSRC2:TRAP_HANDLER: 0
; COMPUTE_PGM_RSRC2:TGID_X_EN: 1
; COMPUTE_PGM_RSRC2:TGID_Y_EN: 0
; COMPUTE_PGM_RSRC2:TGID_Z_EN: 0
; COMPUTE_PGM_RSRC2:TIDIG_COMP_CNT: 0
	.section	.text._ZN2at6native12_GLOBAL__N_125nll_loss2d_forward_kernelIN3c104HalfEflEEvPT_S6_PKS5_PKlS8_iiil,"axG",@progbits,_ZN2at6native12_GLOBAL__N_125nll_loss2d_forward_kernelIN3c104HalfEflEEvPT_S6_PKS5_PKlS8_iiil,comdat
	.globl	_ZN2at6native12_GLOBAL__N_125nll_loss2d_forward_kernelIN3c104HalfEflEEvPT_S6_PKS5_PKlS8_iiil ; -- Begin function _ZN2at6native12_GLOBAL__N_125nll_loss2d_forward_kernelIN3c104HalfEflEEvPT_S6_PKS5_PKlS8_iiil
	.p2align	8
	.type	_ZN2at6native12_GLOBAL__N_125nll_loss2d_forward_kernelIN3c104HalfEflEEvPT_S6_PKS5_PKlS8_iiil,@function
_ZN2at6native12_GLOBAL__N_125nll_loss2d_forward_kernelIN3c104HalfEflEEvPT_S6_PKS5_PKlS8_iiil: ; @_ZN2at6native12_GLOBAL__N_125nll_loss2d_forward_kernelIN3c104HalfEflEEvPT_S6_PKS5_PKlS8_iiil
; %bb.0:
	s_clause 0x2
	s_load_dwordx4 s[16:19], s[4:5], 0x28
	s_load_dwordx2 s[2:3], s[4:5], 0x20
	s_load_dword s7, s[4:5], 0x4c
	v_mov_b32_e32 v4, 0
	s_mov_b32 s20, -1
	s_waitcnt lgkmcnt(0)
	v_cvt_f32_u32_e32 v1, s18
	s_sub_i32 s1, 0, s18
	v_rcp_iflag_f32_e32 v1, v1
	v_mul_f32_e32 v1, 0x4f7ffffe, v1
	v_cvt_u32_f32_e32 v1, v1
	v_readfirstlane_b32 s0, v1
	s_mul_i32 s1, s1, s0
	s_mul_hi_u32 s1, s0, s1
	s_add_i32 s0, s0, s1
	s_mul_hi_u32 s0, s6, s0
	s_mul_i32 s1, s0, s18
	s_add_i32 s8, s0, 1
	s_sub_i32 s1, s6, s1
	s_sub_i32 s9, s1, s18
	s_cmp_ge_u32 s1, s18
	s_cselect_b32 s0, s8, s0
	s_cselect_b32 s1, s9, s1
	s_load_dwordx8 s[8:15], s[4:5], 0x0
	s_add_i32 s19, s0, 1
	s_cmp_ge_u32 s1, s18
	s_cselect_b32 s0, s19, s0
	s_and_b32 s1, s7, 0xffff
	s_mul_i32 s19, s0, s18
	s_mov_b32 s7, 0
	s_sub_i32 s6, s6, s19
	s_mov_b32 s19, exec_lo
	v_mad_u64_u32 v[1:2], null, s6, s1, v[0:1]
	v_mov_b32_e32 v2, 0
	s_mov_b32 s6, 0
	v_cmpx_gt_i32_e64 s17, v1
	s_cbranch_execnz .LBB12_6
; %bb.1:
	s_or_b32 exec_lo, exec_lo, s19
	s_and_saveexec_b32 s0, s20
	s_waitcnt lgkmcnt(0)
	s_xor_b32 s12, exec_lo, s0
	s_cbranch_execnz .LBB12_22
.LBB12_2:
	s_or_b32 exec_lo, exec_lo, s12
	s_mov_b32 s0, 0
	s_and_saveexec_b32 s1, s7
	s_cbranch_execnz .LBB12_48
.LBB12_3:
	s_or_b32 exec_lo, exec_lo, s1
	s_and_saveexec_b32 s1, s6
	s_cbranch_execnz .LBB12_49
.LBB12_4:
	s_or_b32 exec_lo, exec_lo, s1
	s_and_saveexec_b32 s1, s0
	s_cbranch_execnz .LBB12_50
.LBB12_5:
	s_endpgm
.LBB12_6:
	s_load_dwordx2 s[4:5], s[4:5], 0x38
	s_ashr_i32 s20, s17, 31
	v_ashrrev_i32_e32 v2, 31, v1
	s_mul_hi_u32 s6, s0, s17
	s_mul_i32 s7, s0, s20
	s_mul_i32 s22, s0, s17
	s_mov_b32 s21, s17
	s_add_i32 s23, s6, s7
	s_ashr_i32 s17, s16, 31
	s_cmp_lg_u64 s[2:3], 0
	v_lshlrev_b64 v[4:5], 3, v[1:2]
	v_mad_u64_u32 v[2:3], null, s22, s16, v[1:2]
	s_mul_i32 s6, s18, s1
	s_cselect_b32 s18, -1, 0
	s_lshl_b64 s[24:25], s[22:23], 3
	v_mov_b32_e32 v10, 0
	s_waitcnt lgkmcnt(0)
	s_add_u32 s0, s14, s24
	s_addc_u32 s7, s15, s25
	v_add_co_u32 v4, vcc_lo, s0, v4
	s_mul_i32 s0, s22, s17
	s_mul_i32 s14, s23, s16
	v_add_co_ci_u32_e64 v5, null, s7, v5, vcc_lo
	v_add3_u32 v3, s0, s14, v3
	v_mov_b32_e32 v11, 0
	s_ashr_i32 s7, s6, 31
	s_mov_b32 s24, 0
	s_lshl_b64 s[14:15], s[6:7], 3
                                        ; implicit-def: $sgpr23
                                        ; implicit-def: $sgpr22
	s_branch .LBB12_8
.LBB12_7:                               ;   in Loop: Header=BB12_8 Depth=1
	s_or_b32 exec_lo, exec_lo, s25
	s_xor_b32 s0, s27, -1
	s_xor_b32 s25, s26, -1
	s_and_b32 s26, exec_lo, s28
	s_or_b32 s24, s26, s24
	s_andn2_b32 s22, s22, exec_lo
	s_and_b32 s0, s0, exec_lo
	s_andn2_b32 s23, s23, exec_lo
	s_and_b32 s25, s25, exec_lo
	s_or_b32 s22, s22, s0
	s_or_b32 s23, s23, s25
	s_andn2_b32 exec_lo, exec_lo, s24
	s_cbranch_execz .LBB12_19
.LBB12_8:                               ; =>This Inner Loop Header: Depth=1
	global_load_dwordx2 v[6:7], v[4:5], off
	s_mov_b32 s0, -1
	s_mov_b32 s25, exec_lo
                                        ; implicit-def: $sgpr26
                                        ; implicit-def: $sgpr27
	s_waitcnt vmcnt(0)
	v_cmpx_ne_u64_e64 s[4:5], v[6:7]
	s_cbranch_execz .LBB12_17
; %bb.9:                                ;   in Loop: Header=BB12_8 Depth=1
	v_cmp_lt_i64_e32 vcc_lo, -1, v[6:7]
	v_cmp_gt_i64_e64 s0, s[16:17], v[6:7]
	s_mov_b32 s26, -1
	s_mov_b32 s28, 0
	s_mov_b32 s27, 0
	s_and_b32 s29, vcc_lo, s0
	s_and_saveexec_b32 s0, s29
	s_cbranch_execz .LBB12_16
; %bb.10:                               ;   in Loop: Header=BB12_8 Depth=1
	s_andn2_b32 vcc_lo, exec_lo, s18
	s_cbranch_vccnz .LBB12_12
; %bb.11:                               ;   in Loop: Header=BB12_8 Depth=1
	v_lshlrev_b64 v[8:9], 1, v[6:7]
	v_add_co_u32 v8, vcc_lo, s2, v8
	v_add_co_ci_u32_e64 v9, null, s3, v9, vcc_lo
	global_load_ushort v12, v[8:9], off
	s_branch .LBB12_13
.LBB12_12:                              ;   in Loop: Header=BB12_8 Depth=1
	v_mov_b32_e32 v12, 0x3c00
.LBB12_13:                              ;   in Loop: Header=BB12_8 Depth=1
	v_mad_u64_u32 v[8:9], null, v6, s21, v[2:3]
	v_mul_lo_u32 v6, v6, s20
	v_mul_lo_u32 v7, v7, s21
	s_mov_b32 s26, exec_lo
	v_add3_u32 v9, v7, v9, v6
	v_cmpx_lt_i64_e32 -1, v[8:9]
	s_cbranch_execz .LBB12_15
; %bb.14:                               ;   in Loop: Header=BB12_8 Depth=1
	v_lshlrev_b64 v[6:7], 1, v[8:9]
	s_mov_b32 s28, exec_lo
	v_add_co_u32 v6, vcc_lo, s12, v6
	v_add_co_ci_u32_e64 v7, null, s13, v7, vcc_lo
	global_load_ushort v6, v[6:7], off
	s_waitcnt vmcnt(1)
	v_cvt_f32_f16_e32 v7, v12
	v_add_f32_e32 v11, v11, v7
	s_waitcnt vmcnt(0)
	v_mul_f16_e32 v6, v12, v6
	v_cvt_f32_f16_e32 v6, v6
	v_sub_f32_e32 v10, v10, v6
.LBB12_15:                              ;   in Loop: Header=BB12_8 Depth=1
	s_or_b32 exec_lo, exec_lo, s26
	s_mov_b32 s27, exec_lo
	s_xor_b32 s26, exec_lo, -1
	s_and_b32 s28, s28, exec_lo
.LBB12_16:                              ;   in Loop: Header=BB12_8 Depth=1
	s_or_b32 exec_lo, exec_lo, s0
	s_orn2_b32 s0, s28, exec_lo
.LBB12_17:                              ;   in Loop: Header=BB12_8 Depth=1
	s_or_b32 exec_lo, exec_lo, s25
	s_mov_b32 s28, -1
	s_and_saveexec_b32 s25, s0
	s_cbranch_execz .LBB12_7
; %bb.18:                               ;   in Loop: Header=BB12_8 Depth=1
	v_add_nc_u32_e32 v1, s6, v1
	v_add_co_u32 v4, vcc_lo, v4, s14
	v_add_co_ci_u32_e64 v5, null, s15, v5, vcc_lo
	v_cmp_le_i32_e32 vcc_lo, s21, v1
	v_add_co_u32 v2, s0, v2, s6
	v_add_co_ci_u32_e64 v3, null, s7, v3, s0
	s_andn2_b32 s27, s27, exec_lo
	s_andn2_b32 s26, s26, exec_lo
	s_orn2_b32 s28, vcc_lo, exec_lo
	s_branch .LBB12_7
.LBB12_19:
	s_or_b32 exec_lo, exec_lo, s24
	v_mov_b32_e32 v2, 0
	v_mov_b32_e32 v4, 0
	s_mov_b32 s2, 0
	s_mov_b32 s4, -1
	s_mov_b32 s0, 0
	s_and_saveexec_b32 s3, s23
	s_xor_b32 s3, exec_lo, s3
; %bb.20:
	v_mov_b32_e32 v2, v10
	v_mov_b32_e32 v4, v11
	s_mov_b32 s0, exec_lo
	s_xor_b32 s4, exec_lo, -1
	s_and_b32 s2, s22, exec_lo
; %bb.21:
	s_or_b32 exec_lo, exec_lo, s3
	s_and_b32 s6, s4, exec_lo
	s_and_b32 s7, s0, exec_lo
	s_orn2_b32 s20, s2, exec_lo
	s_or_b32 exec_lo, exec_lo, s19
	s_and_saveexec_b32 s0, s20
	s_xor_b32 s12, exec_lo, s0
	s_cbranch_execz .LBB12_2
.LBB12_22:
	v_mbcnt_lo_u32_b32 v6, -1, 0
	v_and_b32_e32 v9, 31, v0
	s_waitcnt vmcnt(0)
	s_barrier
	buffer_gl0_inv
	v_lshl_or_b32 v1, v6, 2, 64
	v_cmp_gt_u32_e32 vcc_lo, 24, v6
	ds_bpermute_b32 v5, v1, v4
	v_cndmask_b32_e64 v3, 0, 8, vcc_lo
	v_cmp_gt_u32_e32 vcc_lo, 28, v6
	v_add_lshl_u32 v3, v3, v6, 2
	s_waitcnt lgkmcnt(0)
	v_add_f32_e32 v5, v4, v5
	v_cndmask_b32_e64 v4, 0, 4, vcc_lo
	v_cmp_gt_u32_e32 vcc_lo, 30, v6
	ds_bpermute_b32 v7, v3, v5
	v_add_lshl_u32 v4, v4, v6, 2
	s_waitcnt lgkmcnt(0)
	v_add_f32_e32 v7, v5, v7
	v_cndmask_b32_e64 v5, 0, 2, vcc_lo
	v_cmp_ne_u32_e32 vcc_lo, 31, v6
	ds_bpermute_b32 v8, v4, v7
	v_add_lshl_u32 v5, v5, v6, 2
	v_add_co_ci_u32_e64 v6, null, 0, v6, vcc_lo
	v_cmp_eq_u32_e32 vcc_lo, 0, v9
	v_lshlrev_b32_e32 v6, 2, v6
	s_waitcnt lgkmcnt(0)
	v_add_f32_e32 v7, v7, v8
	ds_bpermute_b32 v8, v5, v7
	s_waitcnt lgkmcnt(0)
	v_add_f32_e32 v7, v7, v8
	v_lshrrev_b32_e32 v8, 3, v0
	ds_bpermute_b32 v10, v6, v7
	s_and_saveexec_b32 s0, vcc_lo
	s_cbranch_execz .LBB12_24
; %bb.23:
	s_waitcnt lgkmcnt(0)
	v_add_f32_e32 v7, v7, v10
	ds_write_b32 v8, v7 offset:4096
.LBB12_24:
	s_or_b32 exec_lo, exec_lo, s0
	s_lshr_b32 s0, s1, 5
	v_mov_b32_e32 v7, 0
	v_cmp_gt_u32_e64 s0, s0, v0
	v_lshlrev_b32_e32 v9, 2, v9
	s_waitcnt lgkmcnt(0)
	s_barrier
	buffer_gl0_inv
	s_and_saveexec_b32 s1, s0
; %bb.25:
	ds_read_b32 v7, v9 offset:4096
; %bb.26:
	s_or_b32 exec_lo, exec_lo, s1
	v_cmp_gt_u32_e64 s1, 32, v0
	s_and_saveexec_b32 s2, s1
	s_cbranch_execz .LBB12_28
; %bb.27:
	s_waitcnt lgkmcnt(0)
	ds_bpermute_b32 v10, v1, v7
	s_waitcnt lgkmcnt(0)
	v_add_f32_e32 v7, v7, v10
	ds_bpermute_b32 v10, v3, v7
	s_waitcnt lgkmcnt(0)
	v_add_f32_e32 v7, v7, v10
	;; [unrolled: 3-line block ×5, first 2 shown]
.LBB12_28:
	s_or_b32 exec_lo, exec_lo, s2
	ds_bpermute_b32 v10, v1, v2
	s_waitcnt lgkmcnt(0)
	s_barrier
	buffer_gl0_inv
	v_add_f32_e32 v2, v2, v10
	ds_bpermute_b32 v10, v3, v2
	s_waitcnt lgkmcnt(0)
	v_add_f32_e32 v2, v2, v10
	ds_bpermute_b32 v10, v4, v2
	s_waitcnt lgkmcnt(0)
	;; [unrolled: 3-line block ×3, first 2 shown]
	v_add_f32_e32 v2, v2, v10
	ds_bpermute_b32 v10, v6, v2
	s_and_saveexec_b32 s2, vcc_lo
	s_cbranch_execz .LBB12_30
; %bb.29:
	s_waitcnt lgkmcnt(0)
	v_add_f32_e32 v2, v2, v10
	ds_write_b32 v8, v2
.LBB12_30:
	s_or_b32 exec_lo, exec_lo, s2
	v_mov_b32_e32 v2, 0
	s_waitcnt lgkmcnt(0)
	s_barrier
	buffer_gl0_inv
	s_and_saveexec_b32 s2, s0
; %bb.31:
	ds_read_b32 v2, v9
; %bb.32:
	s_or_b32 exec_lo, exec_lo, s2
	s_and_saveexec_b32 s0, s1
	s_cbranch_execz .LBB12_34
; %bb.33:
	s_waitcnt lgkmcnt(0)
	ds_bpermute_b32 v1, v1, v2
	s_waitcnt lgkmcnt(0)
	v_add_f32_e32 v1, v2, v1
	ds_bpermute_b32 v2, v3, v1
	s_waitcnt lgkmcnt(0)
	v_add_f32_e32 v1, v1, v2
	;; [unrolled: 3-line block ×5, first 2 shown]
.LBB12_34:
	s_or_b32 exec_lo, exec_lo, s0
	s_mov_b32 s3, 0
	s_mov_b32 s1, exec_lo
	v_cmpx_eq_u32_e32 0, v0
	s_cbranch_execz .LBB12_47
; %bb.35:
	s_and_b32 s2, s10, 2
	v_cvt_f16_f32_e32 v3, v7
	s_sub_u32 s0, 0, s2
	s_subb_u32 s5, 0, 0
	s_add_u32 s4, s10, s0
	s_addc_u32 s5, s11, s5
	s_cmp_eq_u64 s[2:3], 0
	s_load_dword s10, s[4:5], 0x0
	v_mov_b32_e32 v4, 0
	s_cselect_b32 s0, -1, 0
	s_cmp_lg_u32 s2, 0
	s_cselect_b32 s2, -1, 0
	s_waitcnt lgkmcnt(0)
	v_mov_b32_e32 v1, s10
	s_inst_prefetch 0x1
	s_branch .LBB12_37
	.p2align	6
.LBB12_36:                              ;   in Loop: Header=BB12_37 Depth=1
	global_atomic_cmpswap v0, v4, v[0:1], s[4:5] glc
	s_waitcnt vmcnt(0)
	v_cmp_eq_u32_e32 vcc_lo, v1, v0
	v_mov_b32_e32 v1, v0
	s_or_b32 s3, vcc_lo, s3
	s_andn2_b32 exec_lo, exec_lo, s3
	s_cbranch_execz .LBB12_41
.LBB12_37:                              ; =>This Inner Loop Header: Depth=1
	s_mov_b32 vcc_lo, s0
	s_mov_b32 s10, -1
	v_cndmask_b32_sdwa v0, v1, v1, vcc_lo dst_sel:DWORD dst_unused:UNUSED_PAD src0_sel:WORD_1 src1_sel:DWORD
	s_andn2_b32 vcc_lo, exec_lo, s2
	v_add_f16_e32 v0, v3, v0
	v_and_b32_e32 v5, 0xffff, v0
	s_cbranch_vccnz .LBB12_39
; %bb.38:                               ;   in Loop: Header=BB12_37 Depth=1
	v_and_b32_e32 v0, 0xffff, v1
	s_mov_b32 s10, 0
	v_lshl_or_b32 v0, v5, 16, v0
.LBB12_39:                              ;   in Loop: Header=BB12_37 Depth=1
	s_andn2_b32 vcc_lo, exec_lo, s10
	s_cbranch_vccnz .LBB12_36
; %bb.40:                               ;   in Loop: Header=BB12_37 Depth=1
	v_and_or_b32 v0, 0xffff0000, v1, v5
	s_branch .LBB12_36
.LBB12_41:
	s_inst_prefetch 0x2
	s_or_b32 exec_lo, exec_lo, s3
	s_and_b32 s2, s8, 2
	v_mov_b32_e32 v3, 0
	s_sub_u32 s0, 0, s2
	s_subb_u32 s3, 0, 0
	s_add_u32 s4, s8, s0
	s_addc_u32 s5, s9, s3
	s_mov_b32 s3, 0
	global_load_dword v1, v3, s[4:5]
	s_cmp_eq_u64 s[2:3], 0
	v_cvt_f16_f32_e32 v2, v2
	s_cselect_b32 s0, -1, 0
	s_cmp_lg_u32 s2, 0
	s_cselect_b32 s2, -1, 0
	s_inst_prefetch 0x1
	s_branch .LBB12_43
	.p2align	6
.LBB12_42:                              ;   in Loop: Header=BB12_43 Depth=1
	global_atomic_cmpswap v0, v3, v[0:1], s[4:5] glc
	s_waitcnt vmcnt(0)
	v_cmp_eq_u32_e32 vcc_lo, v1, v0
	v_mov_b32_e32 v1, v0
	s_or_b32 s3, vcc_lo, s3
	s_andn2_b32 exec_lo, exec_lo, s3
	s_cbranch_execz .LBB12_47
.LBB12_43:                              ; =>This Inner Loop Header: Depth=1
	s_mov_b32 vcc_lo, s0
	s_mov_b32 s8, -1
	s_waitcnt vmcnt(0)
	v_cndmask_b32_sdwa v0, v1, v1, vcc_lo dst_sel:DWORD dst_unused:UNUSED_PAD src0_sel:WORD_1 src1_sel:DWORD
	s_andn2_b32 vcc_lo, exec_lo, s2
	v_add_f16_e32 v0, v2, v0
	v_and_b32_e32 v4, 0xffff, v0
	s_cbranch_vccnz .LBB12_45
; %bb.44:                               ;   in Loop: Header=BB12_43 Depth=1
	v_and_b32_e32 v0, 0xffff, v1
	s_mov_b32 s8, 0
	v_lshl_or_b32 v0, v4, 16, v0
.LBB12_45:                              ;   in Loop: Header=BB12_43 Depth=1
	s_andn2_b32 vcc_lo, exec_lo, s8
	s_cbranch_vccnz .LBB12_42
; %bb.46:                               ;   in Loop: Header=BB12_43 Depth=1
	v_and_or_b32 v0, 0xffff0000, v1, v4
	s_branch .LBB12_42
.LBB12_47:
	s_inst_prefetch 0x2
	s_or_b32 exec_lo, exec_lo, s1
	s_andn2_b32 s7, s7, exec_lo
	s_or_b32 exec_lo, exec_lo, s12
	s_mov_b32 s0, 0
	s_and_saveexec_b32 s1, s7
	s_cbranch_execz .LBB12_3
.LBB12_48:
	s_mov_b32 s0, exec_lo
	s_trap 2
	s_or_b32 exec_lo, exec_lo, s1
	s_and_saveexec_b32 s1, s6
	s_cbranch_execz .LBB12_4
.LBB12_49:
	s_or_b32 s0, s0, exec_lo
	s_trap 2
	s_or_b32 exec_lo, exec_lo, s1
	s_and_saveexec_b32 s1, s0
	s_cbranch_execz .LBB12_5
.LBB12_50:
	; divergent unreachable
	s_endpgm
	.section	.rodata,"a",@progbits
	.p2align	6, 0x0
	.amdhsa_kernel _ZN2at6native12_GLOBAL__N_125nll_loss2d_forward_kernelIN3c104HalfEflEEvPT_S6_PKS5_PKlS8_iiil
		.amdhsa_group_segment_fixed_size 8192
		.amdhsa_private_segment_fixed_size 0
		.amdhsa_kernarg_size 320
		.amdhsa_user_sgpr_count 6
		.amdhsa_user_sgpr_private_segment_buffer 1
		.amdhsa_user_sgpr_dispatch_ptr 0
		.amdhsa_user_sgpr_queue_ptr 0
		.amdhsa_user_sgpr_kernarg_segment_ptr 1
		.amdhsa_user_sgpr_dispatch_id 0
		.amdhsa_user_sgpr_flat_scratch_init 0
		.amdhsa_user_sgpr_private_segment_size 0
		.amdhsa_wavefront_size32 1
		.amdhsa_uses_dynamic_stack 0
		.amdhsa_system_sgpr_private_segment_wavefront_offset 0
		.amdhsa_system_sgpr_workgroup_id_x 1
		.amdhsa_system_sgpr_workgroup_id_y 0
		.amdhsa_system_sgpr_workgroup_id_z 0
		.amdhsa_system_sgpr_workgroup_info 0
		.amdhsa_system_vgpr_workitem_id 0
		.amdhsa_next_free_vgpr 13
		.amdhsa_next_free_sgpr 30
		.amdhsa_reserve_vcc 1
		.amdhsa_reserve_flat_scratch 0
		.amdhsa_float_round_mode_32 0
		.amdhsa_float_round_mode_16_64 0
		.amdhsa_float_denorm_mode_32 3
		.amdhsa_float_denorm_mode_16_64 3
		.amdhsa_dx10_clamp 1
		.amdhsa_ieee_mode 1
		.amdhsa_fp16_overflow 0
		.amdhsa_workgroup_processor_mode 1
		.amdhsa_memory_ordered 1
		.amdhsa_forward_progress 1
		.amdhsa_shared_vgpr_count 0
		.amdhsa_exception_fp_ieee_invalid_op 0
		.amdhsa_exception_fp_denorm_src 0
		.amdhsa_exception_fp_ieee_div_zero 0
		.amdhsa_exception_fp_ieee_overflow 0
		.amdhsa_exception_fp_ieee_underflow 0
		.amdhsa_exception_fp_ieee_inexact 0
		.amdhsa_exception_int_div_zero 0
	.end_amdhsa_kernel
	.section	.text._ZN2at6native12_GLOBAL__N_125nll_loss2d_forward_kernelIN3c104HalfEflEEvPT_S6_PKS5_PKlS8_iiil,"axG",@progbits,_ZN2at6native12_GLOBAL__N_125nll_loss2d_forward_kernelIN3c104HalfEflEEvPT_S6_PKS5_PKlS8_iiil,comdat
.Lfunc_end12:
	.size	_ZN2at6native12_GLOBAL__N_125nll_loss2d_forward_kernelIN3c104HalfEflEEvPT_S6_PKS5_PKlS8_iiil, .Lfunc_end12-_ZN2at6native12_GLOBAL__N_125nll_loss2d_forward_kernelIN3c104HalfEflEEvPT_S6_PKS5_PKlS8_iiil
                                        ; -- End function
	.set _ZN2at6native12_GLOBAL__N_125nll_loss2d_forward_kernelIN3c104HalfEflEEvPT_S6_PKS5_PKlS8_iiil.num_vgpr, 13
	.set _ZN2at6native12_GLOBAL__N_125nll_loss2d_forward_kernelIN3c104HalfEflEEvPT_S6_PKS5_PKlS8_iiil.num_agpr, 0
	.set _ZN2at6native12_GLOBAL__N_125nll_loss2d_forward_kernelIN3c104HalfEflEEvPT_S6_PKS5_PKlS8_iiil.numbered_sgpr, 30
	.set _ZN2at6native12_GLOBAL__N_125nll_loss2d_forward_kernelIN3c104HalfEflEEvPT_S6_PKS5_PKlS8_iiil.num_named_barrier, 0
	.set _ZN2at6native12_GLOBAL__N_125nll_loss2d_forward_kernelIN3c104HalfEflEEvPT_S6_PKS5_PKlS8_iiil.private_seg_size, 0
	.set _ZN2at6native12_GLOBAL__N_125nll_loss2d_forward_kernelIN3c104HalfEflEEvPT_S6_PKS5_PKlS8_iiil.uses_vcc, 1
	.set _ZN2at6native12_GLOBAL__N_125nll_loss2d_forward_kernelIN3c104HalfEflEEvPT_S6_PKS5_PKlS8_iiil.uses_flat_scratch, 0
	.set _ZN2at6native12_GLOBAL__N_125nll_loss2d_forward_kernelIN3c104HalfEflEEvPT_S6_PKS5_PKlS8_iiil.has_dyn_sized_stack, 0
	.set _ZN2at6native12_GLOBAL__N_125nll_loss2d_forward_kernelIN3c104HalfEflEEvPT_S6_PKS5_PKlS8_iiil.has_recursion, 0
	.set _ZN2at6native12_GLOBAL__N_125nll_loss2d_forward_kernelIN3c104HalfEflEEvPT_S6_PKS5_PKlS8_iiil.has_indirect_call, 0
	.section	.AMDGPU.csdata,"",@progbits
; Kernel info:
; codeLenInByte = 1980
; TotalNumSgprs: 32
; NumVgprs: 13
; ScratchSize: 0
; MemoryBound: 0
; FloatMode: 240
; IeeeMode: 1
; LDSByteSize: 8192 bytes/workgroup (compile time only)
; SGPRBlocks: 0
; VGPRBlocks: 1
; NumSGPRsForWavesPerEU: 32
; NumVGPRsForWavesPerEU: 13
; Occupancy: 16
; WaveLimiterHint : 1
; COMPUTE_PGM_RSRC2:SCRATCH_EN: 0
; COMPUTE_PGM_RSRC2:USER_SGPR: 6
; COMPUTE_PGM_RSRC2:TRAP_HANDLER: 0
; COMPUTE_PGM_RSRC2:TGID_X_EN: 1
; COMPUTE_PGM_RSRC2:TGID_Y_EN: 0
; COMPUTE_PGM_RSRC2:TGID_Z_EN: 0
; COMPUTE_PGM_RSRC2:TIDIG_COMP_CNT: 0
	.section	.text._ZN2at6native12_GLOBAL__N_125nll_loss2d_forward_kernelIN3c108BFloat16EfiEEvPT_S6_PKS5_PKlS8_iiil,"axG",@progbits,_ZN2at6native12_GLOBAL__N_125nll_loss2d_forward_kernelIN3c108BFloat16EfiEEvPT_S6_PKS5_PKlS8_iiil,comdat
	.globl	_ZN2at6native12_GLOBAL__N_125nll_loss2d_forward_kernelIN3c108BFloat16EfiEEvPT_S6_PKS5_PKlS8_iiil ; -- Begin function _ZN2at6native12_GLOBAL__N_125nll_loss2d_forward_kernelIN3c108BFloat16EfiEEvPT_S6_PKS5_PKlS8_iiil
	.p2align	8
	.type	_ZN2at6native12_GLOBAL__N_125nll_loss2d_forward_kernelIN3c108BFloat16EfiEEvPT_S6_PKS5_PKlS8_iiil,@function
_ZN2at6native12_GLOBAL__N_125nll_loss2d_forward_kernelIN3c108BFloat16EfiEEvPT_S6_PKS5_PKlS8_iiil: ; @_ZN2at6native12_GLOBAL__N_125nll_loss2d_forward_kernelIN3c108BFloat16EfiEEvPT_S6_PKS5_PKlS8_iiil
; %bb.0:
	s_clause 0x2
	s_load_dwordx4 s[16:19], s[4:5], 0x28
	s_load_dwordx2 s[2:3], s[4:5], 0x20
	s_load_dword s7, s[4:5], 0x4c
	v_mov_b32_e32 v4, 0
	s_mov_b32 s21, -1
	s_waitcnt lgkmcnt(0)
	v_cvt_f32_u32_e32 v1, s18
	s_sub_i32 s1, 0, s18
	v_rcp_iflag_f32_e32 v1, v1
	v_mul_f32_e32 v1, 0x4f7ffffe, v1
	v_cvt_u32_f32_e32 v1, v1
	v_readfirstlane_b32 s0, v1
	v_mov_b32_e32 v1, 0
	s_mul_i32 s1, s1, s0
	s_mul_hi_u32 s1, s0, s1
	s_add_i32 s0, s0, s1
	s_mul_hi_u32 s0, s6, s0
	s_mul_i32 s1, s0, s18
	s_add_i32 s8, s0, 1
	s_sub_i32 s1, s6, s1
	s_sub_i32 s9, s1, s18
	s_cmp_ge_u32 s1, s18
	s_cselect_b32 s0, s8, s0
	s_cselect_b32 s1, s9, s1
	s_load_dwordx8 s[8:15], s[4:5], 0x0
	s_add_i32 s19, s0, 1
	s_cmp_ge_u32 s1, s18
	s_cselect_b32 s0, s19, s0
	s_and_b32 s1, s7, 0xffff
	s_mul_i32 s19, s0, s18
	s_mov_b32 s7, 0
	s_sub_i32 s20, s6, s19
	s_mov_b32 s6, 0
	s_mul_i32 s20, s20, s1
	s_mov_b32 s19, exec_lo
	v_add_nc_u32_e32 v7, s20, v0
	v_cmpx_gt_i32_e64 s17, v7
	s_cbranch_execnz .LBB13_6
; %bb.1:
	s_or_b32 exec_lo, exec_lo, s19
	s_and_saveexec_b32 s0, s21
	s_xor_b32 s4, exec_lo, s0
	s_cbranch_execnz .LBB13_22
.LBB13_2:
	s_or_b32 exec_lo, exec_lo, s4
	s_mov_b32 s0, 0
	s_and_saveexec_b32 s1, s7
	s_cbranch_execnz .LBB13_40
.LBB13_3:
	s_or_b32 exec_lo, exec_lo, s1
	s_and_saveexec_b32 s1, s6
	s_cbranch_execnz .LBB13_41
.LBB13_4:
	s_or_b32 exec_lo, exec_lo, s1
	s_and_saveexec_b32 s1, s0
	s_cbranch_execnz .LBB13_42
.LBB13_5:
	s_endpgm
.LBB13_6:
	s_mul_i32 s21, s0, s17
	s_load_dwordx2 s[4:5], s[4:5], 0x38
	v_add3_u32 v3, s20, s21, v0
	s_mul_i32 s6, s18, s1
	s_cmp_lg_u64 s[2:3], 0
	v_mov_b32_e32 v2, 0
	v_mov_b32_e32 v8, 0
	v_ashrrev_i32_e32 v4, 31, v3
	v_mov_b32_e32 v9, 0
	s_cselect_b32 s20, -1, 0
	s_ashr_i32 s7, s6, 31
	s_mul_i32 s21, s21, s16
	v_lshlrev_b64 v[3:4], 3, v[3:4]
	s_mov_b32 s22, 0
                                        ; implicit-def: $sgpr18
	s_waitcnt lgkmcnt(0)
	v_add_co_u32 v3, vcc_lo, s14, v3
	v_add_co_ci_u32_e64 v4, null, s15, v4, vcc_lo
	s_lshl_b64 s[14:15], s[6:7], 3
                                        ; implicit-def: $sgpr7
	s_branch .LBB13_8
.LBB13_7:                               ;   in Loop: Header=BB13_8 Depth=1
	s_or_b32 exec_lo, exec_lo, s26
	s_xor_b32 s0, s25, -1
	s_xor_b32 s24, s24, -1
	s_and_b32 s23, exec_lo, s23
	s_or_b32 s22, s23, s22
	s_andn2_b32 s7, s7, exec_lo
	s_and_b32 s0, s0, exec_lo
	s_andn2_b32 s18, s18, exec_lo
	s_and_b32 s23, s24, exec_lo
	s_or_b32 s7, s7, s0
	s_or_b32 s18, s18, s23
	s_andn2_b32 exec_lo, exec_lo, s22
	s_cbranch_execz .LBB13_19
.LBB13_8:                               ; =>This Inner Loop Header: Depth=1
	global_load_dwordx2 v[5:6], v[3:4], off
	s_mov_b32 s0, -1
	s_mov_b32 s23, exec_lo
                                        ; implicit-def: $sgpr24
                                        ; implicit-def: $sgpr25
	s_waitcnt vmcnt(0)
	v_ashrrev_i32_e32 v6, 31, v5
	v_cmpx_ne_u64_e64 s[4:5], v[5:6]
	s_cbranch_execz .LBB13_17
; %bb.9:                                ;   in Loop: Header=BB13_8 Depth=1
	v_cmp_lt_i32_e32 vcc_lo, -1, v5
	v_cmp_gt_i32_e64 s0, s16, v5
	s_mov_b32 s24, -1
	s_mov_b32 s26, 0
	s_mov_b32 s25, 0
	s_and_b32 s27, vcc_lo, s0
	s_and_saveexec_b32 s0, s27
	s_cbranch_execz .LBB13_16
; %bb.10:                               ;   in Loop: Header=BB13_8 Depth=1
	s_andn2_b32 vcc_lo, exec_lo, s20
	s_cbranch_vccnz .LBB13_12
; %bb.11:                               ;   in Loop: Header=BB13_8 Depth=1
	v_lshlrev_b64 v[10:11], 1, v[5:6]
	v_add_co_u32 v10, vcc_lo, s2, v10
	v_add_co_ci_u32_e64 v11, null, s3, v11, vcc_lo
	global_load_ushort v1, v[10:11], off
	s_waitcnt vmcnt(0)
	v_lshlrev_b32_e32 v6, 16, v1
	s_branch .LBB13_13
.LBB13_12:                              ;   in Loop: Header=BB13_8 Depth=1
	v_mov_b32_e32 v6, 1.0
.LBB13_13:                              ;   in Loop: Header=BB13_8 Depth=1
	v_mul_lo_u32 v1, s17, v5
	s_mov_b32 s24, exec_lo
	v_add3_u32 v1, s21, v7, v1
	v_cmpx_lt_i32_e32 -1, v1
	s_cbranch_execz .LBB13_15
; %bb.14:                               ;   in Loop: Header=BB13_8 Depth=1
	v_lshlrev_b64 v[10:11], 1, v[1:2]
	v_add_f32_e32 v9, v9, v6
	s_mov_b32 s26, exec_lo
	v_add_co_u32 v10, vcc_lo, s12, v10
	v_add_co_ci_u32_e64 v11, null, s13, v11, vcc_lo
	global_load_ushort v1, v[10:11], off
	s_waitcnt vmcnt(0)
	v_lshlrev_b32_e32 v1, 16, v1
	v_mul_f32_e32 v1, v6, v1
	v_bfe_u32 v5, v1, 16, 1
	v_cmp_o_f32_e32 vcc_lo, v1, v1
	v_add3_u32 v5, v1, v5, 0x7fff
	v_and_b32_e32 v5, 0xffff0000, v5
	v_cndmask_b32_e32 v1, 0x7fc00000, v5, vcc_lo
	v_sub_f32_e32 v8, v8, v1
.LBB13_15:                              ;   in Loop: Header=BB13_8 Depth=1
	s_or_b32 exec_lo, exec_lo, s24
	s_mov_b32 s25, exec_lo
	s_xor_b32 s24, exec_lo, -1
	s_and_b32 s26, s26, exec_lo
.LBB13_16:                              ;   in Loop: Header=BB13_8 Depth=1
	s_or_b32 exec_lo, exec_lo, s0
	s_orn2_b32 s0, s26, exec_lo
.LBB13_17:                              ;   in Loop: Header=BB13_8 Depth=1
	s_or_b32 exec_lo, exec_lo, s23
	s_mov_b32 s23, -1
	s_and_saveexec_b32 s26, s0
	s_cbranch_execz .LBB13_7
; %bb.18:                               ;   in Loop: Header=BB13_8 Depth=1
	v_add_nc_u32_e32 v7, s6, v7
	v_add_co_u32 v3, s0, v3, s14
	v_add_co_ci_u32_e64 v4, null, s15, v4, s0
	v_cmp_le_i32_e32 vcc_lo, s17, v7
	s_andn2_b32 s25, s25, exec_lo
	s_andn2_b32 s24, s24, exec_lo
	s_orn2_b32 s23, vcc_lo, exec_lo
	s_branch .LBB13_7
.LBB13_19:
	s_or_b32 exec_lo, exec_lo, s22
	v_mov_b32_e32 v1, 0
	v_mov_b32_e32 v4, 0
	s_mov_b32 s2, 0
	s_mov_b32 s4, -1
	s_mov_b32 s0, 0
	s_and_saveexec_b32 s3, s18
	s_xor_b32 s3, exec_lo, s3
; %bb.20:
	v_mov_b32_e32 v1, v8
	v_mov_b32_e32 v4, v9
	s_mov_b32 s0, exec_lo
	s_xor_b32 s4, exec_lo, -1
	s_and_b32 s2, s7, exec_lo
; %bb.21:
	s_or_b32 exec_lo, exec_lo, s3
	s_and_b32 s6, s4, exec_lo
	s_and_b32 s7, s0, exec_lo
	s_orn2_b32 s21, s2, exec_lo
	s_or_b32 exec_lo, exec_lo, s19
	s_and_saveexec_b32 s0, s21
	s_xor_b32 s4, exec_lo, s0
	s_cbranch_execz .LBB13_2
.LBB13_22:
	v_mbcnt_lo_u32_b32 v6, -1, 0
	s_waitcnt lgkmcnt(0)
	s_barrier
	buffer_gl0_inv
	v_lshl_or_b32 v2, v6, 2, 64
	v_cmp_gt_u32_e32 vcc_lo, 24, v6
	ds_bpermute_b32 v5, v2, v4
	v_cndmask_b32_e64 v3, 0, 8, vcc_lo
	v_cmp_gt_u32_e32 vcc_lo, 28, v6
	v_add_lshl_u32 v3, v3, v6, 2
	s_waitcnt lgkmcnt(0)
	v_add_f32_e32 v5, v4, v5
	v_cndmask_b32_e64 v4, 0, 4, vcc_lo
	v_cmp_gt_u32_e32 vcc_lo, 30, v6
	ds_bpermute_b32 v7, v3, v5
	v_add_lshl_u32 v4, v4, v6, 2
	s_waitcnt lgkmcnt(0)
	v_add_f32_e32 v7, v5, v7
	v_cndmask_b32_e64 v5, 0, 2, vcc_lo
	v_cmp_ne_u32_e32 vcc_lo, 31, v6
	ds_bpermute_b32 v8, v4, v7
	v_add_lshl_u32 v5, v5, v6, 2
	v_add_co_ci_u32_e64 v9, null, 0, v6, vcc_lo
	s_waitcnt lgkmcnt(0)
	v_add_f32_e32 v7, v7, v8
	ds_bpermute_b32 v8, v5, v7
	s_waitcnt lgkmcnt(0)
	v_add_f32_e32 v6, v7, v8
	v_lshlrev_b32_e32 v7, 2, v9
	v_and_b32_e32 v9, 31, v0
	v_lshrrev_b32_e32 v8, 3, v0
	ds_bpermute_b32 v10, v7, v6
	v_cmp_eq_u32_e32 vcc_lo, 0, v9
	s_and_saveexec_b32 s0, vcc_lo
	s_cbranch_execz .LBB13_24
; %bb.23:
	s_waitcnt lgkmcnt(0)
	v_add_f32_e32 v6, v6, v10
	ds_write_b32 v8, v6 offset:4096
.LBB13_24:
	s_or_b32 exec_lo, exec_lo, s0
	s_lshr_b32 s0, s1, 5
	v_mov_b32_e32 v6, 0
	v_cmp_gt_u32_e64 s0, s0, v0
	v_lshlrev_b32_e32 v9, 2, v9
	s_waitcnt lgkmcnt(0)
	s_barrier
	buffer_gl0_inv
	s_and_saveexec_b32 s1, s0
; %bb.25:
	ds_read_b32 v6, v9 offset:4096
; %bb.26:
	s_or_b32 exec_lo, exec_lo, s1
	v_cmp_gt_u32_e64 s1, 32, v0
	s_and_saveexec_b32 s2, s1
	s_cbranch_execz .LBB13_28
; %bb.27:
	s_waitcnt lgkmcnt(0)
	ds_bpermute_b32 v10, v2, v6
	s_waitcnt lgkmcnt(0)
	v_add_f32_e32 v6, v6, v10
	ds_bpermute_b32 v10, v3, v6
	s_waitcnt lgkmcnt(0)
	v_add_f32_e32 v6, v6, v10
	;; [unrolled: 3-line block ×5, first 2 shown]
.LBB13_28:
	s_or_b32 exec_lo, exec_lo, s2
	ds_bpermute_b32 v10, v2, v1
	s_waitcnt lgkmcnt(0)
	s_barrier
	buffer_gl0_inv
	v_add_f32_e32 v1, v1, v10
	ds_bpermute_b32 v10, v3, v1
	s_waitcnt lgkmcnt(0)
	v_add_f32_e32 v1, v1, v10
	ds_bpermute_b32 v10, v4, v1
	s_waitcnt lgkmcnt(0)
	;; [unrolled: 3-line block ×3, first 2 shown]
	v_add_f32_e32 v1, v1, v10
	ds_bpermute_b32 v10, v7, v1
	s_and_saveexec_b32 s2, vcc_lo
	s_cbranch_execz .LBB13_30
; %bb.29:
	s_waitcnt lgkmcnt(0)
	v_add_f32_e32 v1, v1, v10
	ds_write_b32 v8, v1
.LBB13_30:
	s_or_b32 exec_lo, exec_lo, s2
	v_mov_b32_e32 v8, 0
	s_waitcnt lgkmcnt(0)
	s_barrier
	buffer_gl0_inv
	s_and_saveexec_b32 s2, s0
; %bb.31:
	ds_read_b32 v8, v9
; %bb.32:
	s_or_b32 exec_lo, exec_lo, s2
	s_and_saveexec_b32 s0, s1
	s_cbranch_execz .LBB13_34
; %bb.33:
	s_waitcnt lgkmcnt(0)
	ds_bpermute_b32 v1, v2, v8
	s_waitcnt lgkmcnt(0)
	v_add_f32_e32 v1, v8, v1
	ds_bpermute_b32 v2, v3, v1
	s_waitcnt lgkmcnt(0)
	v_add_f32_e32 v1, v1, v2
	;; [unrolled: 3-line block ×5, first 2 shown]
.LBB13_34:
	s_or_b32 exec_lo, exec_lo, s0
	s_mov_b32 s1, 0
	s_mov_b32 s5, exec_lo
	v_cmpx_eq_u32_e32 0, v0
	s_cbranch_execz .LBB13_39
; %bb.35:
	s_and_b32 s0, s10, 2
	v_bfe_u32 v0, v6, 16, 1
	s_sub_u32 s2, 0, s0
	s_subb_u32 s3, 0, 0
	s_add_u32 s2, s10, s2
	s_addc_u32 s3, s11, s3
	v_add3_u32 v0, v6, v0, 0x7fff
	s_load_dword s10, s[2:3], 0x0
	v_cmp_o_f32_e32 vcc_lo, v6, v6
	v_mov_b32_e32 v2, 0
	v_mov_b32_e32 v4, 0x7fc0
	v_and_b32_e32 v0, 0xffff0000, v0
	s_cmp_eq_u64 s[0:1], 0
	s_cselect_b32 s0, -1, 0
	v_cndmask_b32_e32 v3, 0x7fc00000, v0, vcc_lo
	s_waitcnt lgkmcnt(0)
	v_mov_b32_e32 v1, s10
	.p2align	6
.LBB13_36:                              ; =>This Inner Loop Header: Depth=1
	v_and_b32_e32 v0, 0xffff, v1
	s_mov_b32 vcc_lo, s0
	v_cndmask_b32_sdwa v5, v1, v0, vcc_lo dst_sel:WORD_1 dst_unused:UNUSED_PAD src0_sel:WORD_1 src1_sel:DWORD
	v_add_f32_e32 v5, v3, v5
	v_bfe_u32 v6, v5, 16, 1
	v_cmp_o_f32_e32 vcc_lo, v5, v5
	v_add3_u32 v5, v5, v6, 0x7fff
	v_cndmask_b32_sdwa v5, v4, v5, vcc_lo dst_sel:DWORD dst_unused:UNUSED_PAD src0_sel:DWORD src1_sel:WORD_1
	v_lshl_or_b32 v0, v5, 16, v0
	v_and_or_b32 v5, 0xffff0000, v1, v5
	v_cndmask_b32_e64 v0, v0, v5, s0
	global_atomic_cmpswap v0, v2, v[0:1], s[2:3] glc
	s_waitcnt vmcnt(0)
	v_cmp_eq_u32_e32 vcc_lo, v1, v0
	v_mov_b32_e32 v1, v0
	s_or_b32 s1, vcc_lo, s1
	s_andn2_b32 exec_lo, exec_lo, s1
	s_cbranch_execnz .LBB13_36
; %bb.37:
	s_or_b32 exec_lo, exec_lo, s1
	s_and_b32 s0, s8, 2
	v_mov_b32_e32 v2, 0
	s_sub_u32 s1, 0, s0
	s_subb_u32 s3, 0, 0
	s_add_u32 s2, s8, s1
	s_addc_u32 s3, s9, s3
	v_bfe_u32 v0, v8, 16, 1
	global_load_dword v1, v2, s[2:3]
	v_cmp_o_f32_e32 vcc_lo, v8, v8
	s_mov_b32 s1, 0
	v_mov_b32_e32 v4, 0x7fc0
	v_add3_u32 v0, v8, v0, 0x7fff
	s_cmp_eq_u64 s[0:1], 0
	s_cselect_b32 s0, -1, 0
	v_and_b32_e32 v0, 0xffff0000, v0
	v_cndmask_b32_e32 v3, 0x7fc00000, v0, vcc_lo
	.p2align	6
.LBB13_38:                              ; =>This Inner Loop Header: Depth=1
	s_waitcnt vmcnt(0)
	v_and_b32_e32 v0, 0xffff, v1
	s_mov_b32 vcc_lo, s0
	v_cndmask_b32_sdwa v5, v1, v0, vcc_lo dst_sel:WORD_1 dst_unused:UNUSED_PAD src0_sel:WORD_1 src1_sel:DWORD
	v_add_f32_e32 v5, v3, v5
	v_bfe_u32 v6, v5, 16, 1
	v_cmp_o_f32_e32 vcc_lo, v5, v5
	v_add3_u32 v5, v5, v6, 0x7fff
	v_cndmask_b32_sdwa v5, v4, v5, vcc_lo dst_sel:DWORD dst_unused:UNUSED_PAD src0_sel:DWORD src1_sel:WORD_1
	v_lshl_or_b32 v0, v5, 16, v0
	v_and_or_b32 v5, 0xffff0000, v1, v5
	v_cndmask_b32_e64 v0, v0, v5, s0
	global_atomic_cmpswap v0, v2, v[0:1], s[2:3] glc
	s_waitcnt vmcnt(0)
	v_cmp_eq_u32_e32 vcc_lo, v1, v0
	v_mov_b32_e32 v1, v0
	s_or_b32 s1, vcc_lo, s1
	s_andn2_b32 exec_lo, exec_lo, s1
	s_cbranch_execnz .LBB13_38
.LBB13_39:
	s_or_b32 exec_lo, exec_lo, s5
	s_andn2_b32 s7, s7, exec_lo
	s_or_b32 exec_lo, exec_lo, s4
	s_mov_b32 s0, 0
	s_and_saveexec_b32 s1, s7
	s_cbranch_execz .LBB13_3
.LBB13_40:
	s_mov_b32 s0, exec_lo
	s_trap 2
	s_or_b32 exec_lo, exec_lo, s1
	s_and_saveexec_b32 s1, s6
	s_cbranch_execz .LBB13_4
.LBB13_41:
	s_or_b32 s0, s0, exec_lo
	s_trap 2
	s_or_b32 exec_lo, exec_lo, s1
	s_and_saveexec_b32 s1, s0
	s_cbranch_execz .LBB13_5
.LBB13_42:
	; divergent unreachable
	s_endpgm
	.section	.rodata,"a",@progbits
	.p2align	6, 0x0
	.amdhsa_kernel _ZN2at6native12_GLOBAL__N_125nll_loss2d_forward_kernelIN3c108BFloat16EfiEEvPT_S6_PKS5_PKlS8_iiil
		.amdhsa_group_segment_fixed_size 8192
		.amdhsa_private_segment_fixed_size 0
		.amdhsa_kernarg_size 320
		.amdhsa_user_sgpr_count 6
		.amdhsa_user_sgpr_private_segment_buffer 1
		.amdhsa_user_sgpr_dispatch_ptr 0
		.amdhsa_user_sgpr_queue_ptr 0
		.amdhsa_user_sgpr_kernarg_segment_ptr 1
		.amdhsa_user_sgpr_dispatch_id 0
		.amdhsa_user_sgpr_flat_scratch_init 0
		.amdhsa_user_sgpr_private_segment_size 0
		.amdhsa_wavefront_size32 1
		.amdhsa_uses_dynamic_stack 0
		.amdhsa_system_sgpr_private_segment_wavefront_offset 0
		.amdhsa_system_sgpr_workgroup_id_x 1
		.amdhsa_system_sgpr_workgroup_id_y 0
		.amdhsa_system_sgpr_workgroup_id_z 0
		.amdhsa_system_sgpr_workgroup_info 0
		.amdhsa_system_vgpr_workitem_id 0
		.amdhsa_next_free_vgpr 12
		.amdhsa_next_free_sgpr 28
		.amdhsa_reserve_vcc 1
		.amdhsa_reserve_flat_scratch 0
		.amdhsa_float_round_mode_32 0
		.amdhsa_float_round_mode_16_64 0
		.amdhsa_float_denorm_mode_32 3
		.amdhsa_float_denorm_mode_16_64 3
		.amdhsa_dx10_clamp 1
		.amdhsa_ieee_mode 1
		.amdhsa_fp16_overflow 0
		.amdhsa_workgroup_processor_mode 1
		.amdhsa_memory_ordered 1
		.amdhsa_forward_progress 1
		.amdhsa_shared_vgpr_count 0
		.amdhsa_exception_fp_ieee_invalid_op 0
		.amdhsa_exception_fp_denorm_src 0
		.amdhsa_exception_fp_ieee_div_zero 0
		.amdhsa_exception_fp_ieee_overflow 0
		.amdhsa_exception_fp_ieee_underflow 0
		.amdhsa_exception_fp_ieee_inexact 0
		.amdhsa_exception_int_div_zero 0
	.end_amdhsa_kernel
	.section	.text._ZN2at6native12_GLOBAL__N_125nll_loss2d_forward_kernelIN3c108BFloat16EfiEEvPT_S6_PKS5_PKlS8_iiil,"axG",@progbits,_ZN2at6native12_GLOBAL__N_125nll_loss2d_forward_kernelIN3c108BFloat16EfiEEvPT_S6_PKS5_PKlS8_iiil,comdat
.Lfunc_end13:
	.size	_ZN2at6native12_GLOBAL__N_125nll_loss2d_forward_kernelIN3c108BFloat16EfiEEvPT_S6_PKS5_PKlS8_iiil, .Lfunc_end13-_ZN2at6native12_GLOBAL__N_125nll_loss2d_forward_kernelIN3c108BFloat16EfiEEvPT_S6_PKS5_PKlS8_iiil
                                        ; -- End function
	.set _ZN2at6native12_GLOBAL__N_125nll_loss2d_forward_kernelIN3c108BFloat16EfiEEvPT_S6_PKS5_PKlS8_iiil.num_vgpr, 12
	.set _ZN2at6native12_GLOBAL__N_125nll_loss2d_forward_kernelIN3c108BFloat16EfiEEvPT_S6_PKS5_PKlS8_iiil.num_agpr, 0
	.set _ZN2at6native12_GLOBAL__N_125nll_loss2d_forward_kernelIN3c108BFloat16EfiEEvPT_S6_PKS5_PKlS8_iiil.numbered_sgpr, 28
	.set _ZN2at6native12_GLOBAL__N_125nll_loss2d_forward_kernelIN3c108BFloat16EfiEEvPT_S6_PKS5_PKlS8_iiil.num_named_barrier, 0
	.set _ZN2at6native12_GLOBAL__N_125nll_loss2d_forward_kernelIN3c108BFloat16EfiEEvPT_S6_PKS5_PKlS8_iiil.private_seg_size, 0
	.set _ZN2at6native12_GLOBAL__N_125nll_loss2d_forward_kernelIN3c108BFloat16EfiEEvPT_S6_PKS5_PKlS8_iiil.uses_vcc, 1
	.set _ZN2at6native12_GLOBAL__N_125nll_loss2d_forward_kernelIN3c108BFloat16EfiEEvPT_S6_PKS5_PKlS8_iiil.uses_flat_scratch, 0
	.set _ZN2at6native12_GLOBAL__N_125nll_loss2d_forward_kernelIN3c108BFloat16EfiEEvPT_S6_PKS5_PKlS8_iiil.has_dyn_sized_stack, 0
	.set _ZN2at6native12_GLOBAL__N_125nll_loss2d_forward_kernelIN3c108BFloat16EfiEEvPT_S6_PKS5_PKlS8_iiil.has_recursion, 0
	.set _ZN2at6native12_GLOBAL__N_125nll_loss2d_forward_kernelIN3c108BFloat16EfiEEvPT_S6_PKS5_PKlS8_iiil.has_indirect_call, 0
	.section	.AMDGPU.csdata,"",@progbits
; Kernel info:
; codeLenInByte = 2044
; TotalNumSgprs: 30
; NumVgprs: 12
; ScratchSize: 0
; MemoryBound: 0
; FloatMode: 240
; IeeeMode: 1
; LDSByteSize: 8192 bytes/workgroup (compile time only)
; SGPRBlocks: 0
; VGPRBlocks: 1
; NumSGPRsForWavesPerEU: 30
; NumVGPRsForWavesPerEU: 12
; Occupancy: 16
; WaveLimiterHint : 1
; COMPUTE_PGM_RSRC2:SCRATCH_EN: 0
; COMPUTE_PGM_RSRC2:USER_SGPR: 6
; COMPUTE_PGM_RSRC2:TRAP_HANDLER: 0
; COMPUTE_PGM_RSRC2:TGID_X_EN: 1
; COMPUTE_PGM_RSRC2:TGID_Y_EN: 0
; COMPUTE_PGM_RSRC2:TGID_Z_EN: 0
; COMPUTE_PGM_RSRC2:TIDIG_COMP_CNT: 0
	.section	.text._ZN2at6native12_GLOBAL__N_138nll_loss2d_forward_size_average_kernelIN3c108BFloat16EEEvPT_PKS5_,"axG",@progbits,_ZN2at6native12_GLOBAL__N_138nll_loss2d_forward_size_average_kernelIN3c108BFloat16EEEvPT_PKS5_,comdat
	.globl	_ZN2at6native12_GLOBAL__N_138nll_loss2d_forward_size_average_kernelIN3c108BFloat16EEEvPT_PKS5_ ; -- Begin function _ZN2at6native12_GLOBAL__N_138nll_loss2d_forward_size_average_kernelIN3c108BFloat16EEEvPT_PKS5_
	.p2align	8
	.type	_ZN2at6native12_GLOBAL__N_138nll_loss2d_forward_size_average_kernelIN3c108BFloat16EEEvPT_PKS5_,@function
_ZN2at6native12_GLOBAL__N_138nll_loss2d_forward_size_average_kernelIN3c108BFloat16EEEvPT_PKS5_: ; @_ZN2at6native12_GLOBAL__N_138nll_loss2d_forward_size_average_kernelIN3c108BFloat16EEEvPT_PKS5_
; %bb.0:
	s_load_dwordx4 s[0:3], s[4:5], 0x0
	v_mov_b32_e32 v0, 0
	s_waitcnt lgkmcnt(0)
	s_clause 0x1
	global_load_ushort v1, v0, s[0:1]
	global_load_ushort v2, v0, s[2:3]
	s_waitcnt vmcnt(1)
	v_lshlrev_b32_e32 v1, 16, v1
	s_waitcnt vmcnt(0)
	v_lshlrev_b32_e32 v2, 16, v2
	v_div_scale_f32 v3, null, v2, v2, v1
	v_div_scale_f32 v6, vcc_lo, v1, v2, v1
	v_rcp_f32_e32 v4, v3
	v_fma_f32 v5, -v3, v4, 1.0
	v_fmac_f32_e32 v4, v5, v4
	v_mul_f32_e32 v5, v6, v4
	v_fma_f32 v7, -v3, v5, v6
	v_fmac_f32_e32 v5, v7, v4
	v_fma_f32 v3, -v3, v5, v6
	v_div_fmas_f32 v3, v3, v4, v5
	v_div_fixup_f32 v1, v3, v2, v1
	v_bfe_u32 v2, v1, 16, 1
	v_cmp_o_f32_e32 vcc_lo, v1, v1
	v_add_nc_u32_e32 v2, v1, v2
	v_add_nc_u32_e32 v1, 0x7fff, v2
	v_mov_b32_e32 v2, 0x7fc0
	v_cndmask_b32_sdwa v1, v2, v1, vcc_lo dst_sel:DWORD dst_unused:UNUSED_PAD src0_sel:DWORD src1_sel:WORD_1
	global_store_short v0, v1, s[0:1]
	s_endpgm
	.section	.rodata,"a",@progbits
	.p2align	6, 0x0
	.amdhsa_kernel _ZN2at6native12_GLOBAL__N_138nll_loss2d_forward_size_average_kernelIN3c108BFloat16EEEvPT_PKS5_
		.amdhsa_group_segment_fixed_size 0
		.amdhsa_private_segment_fixed_size 0
		.amdhsa_kernarg_size 16
		.amdhsa_user_sgpr_count 6
		.amdhsa_user_sgpr_private_segment_buffer 1
		.amdhsa_user_sgpr_dispatch_ptr 0
		.amdhsa_user_sgpr_queue_ptr 0
		.amdhsa_user_sgpr_kernarg_segment_ptr 1
		.amdhsa_user_sgpr_dispatch_id 0
		.amdhsa_user_sgpr_flat_scratch_init 0
		.amdhsa_user_sgpr_private_segment_size 0
		.amdhsa_wavefront_size32 1
		.amdhsa_uses_dynamic_stack 0
		.amdhsa_system_sgpr_private_segment_wavefront_offset 0
		.amdhsa_system_sgpr_workgroup_id_x 1
		.amdhsa_system_sgpr_workgroup_id_y 0
		.amdhsa_system_sgpr_workgroup_id_z 0
		.amdhsa_system_sgpr_workgroup_info 0
		.amdhsa_system_vgpr_workitem_id 0
		.amdhsa_next_free_vgpr 8
		.amdhsa_next_free_sgpr 6
		.amdhsa_reserve_vcc 1
		.amdhsa_reserve_flat_scratch 0
		.amdhsa_float_round_mode_32 0
		.amdhsa_float_round_mode_16_64 0
		.amdhsa_float_denorm_mode_32 3
		.amdhsa_float_denorm_mode_16_64 3
		.amdhsa_dx10_clamp 1
		.amdhsa_ieee_mode 1
		.amdhsa_fp16_overflow 0
		.amdhsa_workgroup_processor_mode 1
		.amdhsa_memory_ordered 1
		.amdhsa_forward_progress 1
		.amdhsa_shared_vgpr_count 0
		.amdhsa_exception_fp_ieee_invalid_op 0
		.amdhsa_exception_fp_denorm_src 0
		.amdhsa_exception_fp_ieee_div_zero 0
		.amdhsa_exception_fp_ieee_overflow 0
		.amdhsa_exception_fp_ieee_underflow 0
		.amdhsa_exception_fp_ieee_inexact 0
		.amdhsa_exception_int_div_zero 0
	.end_amdhsa_kernel
	.section	.text._ZN2at6native12_GLOBAL__N_138nll_loss2d_forward_size_average_kernelIN3c108BFloat16EEEvPT_PKS5_,"axG",@progbits,_ZN2at6native12_GLOBAL__N_138nll_loss2d_forward_size_average_kernelIN3c108BFloat16EEEvPT_PKS5_,comdat
.Lfunc_end14:
	.size	_ZN2at6native12_GLOBAL__N_138nll_loss2d_forward_size_average_kernelIN3c108BFloat16EEEvPT_PKS5_, .Lfunc_end14-_ZN2at6native12_GLOBAL__N_138nll_loss2d_forward_size_average_kernelIN3c108BFloat16EEEvPT_PKS5_
                                        ; -- End function
	.set _ZN2at6native12_GLOBAL__N_138nll_loss2d_forward_size_average_kernelIN3c108BFloat16EEEvPT_PKS5_.num_vgpr, 8
	.set _ZN2at6native12_GLOBAL__N_138nll_loss2d_forward_size_average_kernelIN3c108BFloat16EEEvPT_PKS5_.num_agpr, 0
	.set _ZN2at6native12_GLOBAL__N_138nll_loss2d_forward_size_average_kernelIN3c108BFloat16EEEvPT_PKS5_.numbered_sgpr, 6
	.set _ZN2at6native12_GLOBAL__N_138nll_loss2d_forward_size_average_kernelIN3c108BFloat16EEEvPT_PKS5_.num_named_barrier, 0
	.set _ZN2at6native12_GLOBAL__N_138nll_loss2d_forward_size_average_kernelIN3c108BFloat16EEEvPT_PKS5_.private_seg_size, 0
	.set _ZN2at6native12_GLOBAL__N_138nll_loss2d_forward_size_average_kernelIN3c108BFloat16EEEvPT_PKS5_.uses_vcc, 1
	.set _ZN2at6native12_GLOBAL__N_138nll_loss2d_forward_size_average_kernelIN3c108BFloat16EEEvPT_PKS5_.uses_flat_scratch, 0
	.set _ZN2at6native12_GLOBAL__N_138nll_loss2d_forward_size_average_kernelIN3c108BFloat16EEEvPT_PKS5_.has_dyn_sized_stack, 0
	.set _ZN2at6native12_GLOBAL__N_138nll_loss2d_forward_size_average_kernelIN3c108BFloat16EEEvPT_PKS5_.has_recursion, 0
	.set _ZN2at6native12_GLOBAL__N_138nll_loss2d_forward_size_average_kernelIN3c108BFloat16EEEvPT_PKS5_.has_indirect_call, 0
	.section	.AMDGPU.csdata,"",@progbits
; Kernel info:
; codeLenInByte = 176
; TotalNumSgprs: 8
; NumVgprs: 8
; ScratchSize: 0
; MemoryBound: 0
; FloatMode: 240
; IeeeMode: 1
; LDSByteSize: 0 bytes/workgroup (compile time only)
; SGPRBlocks: 0
; VGPRBlocks: 0
; NumSGPRsForWavesPerEU: 8
; NumVGPRsForWavesPerEU: 8
; Occupancy: 16
; WaveLimiterHint : 0
; COMPUTE_PGM_RSRC2:SCRATCH_EN: 0
; COMPUTE_PGM_RSRC2:USER_SGPR: 6
; COMPUTE_PGM_RSRC2:TRAP_HANDLER: 0
; COMPUTE_PGM_RSRC2:TGID_X_EN: 1
; COMPUTE_PGM_RSRC2:TGID_Y_EN: 0
; COMPUTE_PGM_RSRC2:TGID_Z_EN: 0
; COMPUTE_PGM_RSRC2:TIDIG_COMP_CNT: 0
	.section	.text._ZN2at6native12_GLOBAL__N_125nll_loss2d_forward_kernelIN3c108BFloat16EflEEvPT_S6_PKS5_PKlS8_iiil,"axG",@progbits,_ZN2at6native12_GLOBAL__N_125nll_loss2d_forward_kernelIN3c108BFloat16EflEEvPT_S6_PKS5_PKlS8_iiil,comdat
	.globl	_ZN2at6native12_GLOBAL__N_125nll_loss2d_forward_kernelIN3c108BFloat16EflEEvPT_S6_PKS5_PKlS8_iiil ; -- Begin function _ZN2at6native12_GLOBAL__N_125nll_loss2d_forward_kernelIN3c108BFloat16EflEEvPT_S6_PKS5_PKlS8_iiil
	.p2align	8
	.type	_ZN2at6native12_GLOBAL__N_125nll_loss2d_forward_kernelIN3c108BFloat16EflEEvPT_S6_PKS5_PKlS8_iiil,@function
_ZN2at6native12_GLOBAL__N_125nll_loss2d_forward_kernelIN3c108BFloat16EflEEvPT_S6_PKS5_PKlS8_iiil: ; @_ZN2at6native12_GLOBAL__N_125nll_loss2d_forward_kernelIN3c108BFloat16EflEEvPT_S6_PKS5_PKlS8_iiil
; %bb.0:
	s_clause 0x2
	s_load_dwordx4 s[16:19], s[4:5], 0x28
	s_load_dwordx2 s[2:3], s[4:5], 0x20
	s_load_dword s7, s[4:5], 0x4c
	v_mov_b32_e32 v4, 0
	s_mov_b32 s20, -1
	s_waitcnt lgkmcnt(0)
	v_cvt_f32_u32_e32 v1, s18
	s_sub_i32 s1, 0, s18
	v_rcp_iflag_f32_e32 v1, v1
	v_mul_f32_e32 v1, 0x4f7ffffe, v1
	v_cvt_u32_f32_e32 v1, v1
	v_readfirstlane_b32 s0, v1
	s_mul_i32 s1, s1, s0
	s_mul_hi_u32 s1, s0, s1
	s_add_i32 s0, s0, s1
	s_mul_hi_u32 s0, s6, s0
	s_mul_i32 s1, s0, s18
	s_add_i32 s8, s0, 1
	s_sub_i32 s1, s6, s1
	s_sub_i32 s9, s1, s18
	s_cmp_ge_u32 s1, s18
	s_cselect_b32 s0, s8, s0
	s_cselect_b32 s1, s9, s1
	s_load_dwordx8 s[8:15], s[4:5], 0x0
	s_add_i32 s19, s0, 1
	s_cmp_ge_u32 s1, s18
	s_cselect_b32 s0, s19, s0
	s_and_b32 s1, s7, 0xffff
	s_mul_i32 s19, s0, s18
	s_mov_b32 s7, 0
	s_sub_i32 s6, s6, s19
	s_mov_b32 s19, exec_lo
	v_mad_u64_u32 v[1:2], null, s6, s1, v[0:1]
	v_mov_b32_e32 v2, 0
	s_mov_b32 s6, 0
	v_cmpx_gt_i32_e64 s17, v1
	s_cbranch_execnz .LBB15_6
; %bb.1:
	s_or_b32 exec_lo, exec_lo, s19
	s_and_saveexec_b32 s0, s20
	s_xor_b32 s4, exec_lo, s0
	s_cbranch_execnz .LBB15_22
.LBB15_2:
	s_or_b32 exec_lo, exec_lo, s4
	s_mov_b32 s0, 0
	s_and_saveexec_b32 s1, s7
	s_cbranch_execnz .LBB15_40
.LBB15_3:
	s_or_b32 exec_lo, exec_lo, s1
	s_and_saveexec_b32 s1, s6
	s_cbranch_execnz .LBB15_41
.LBB15_4:
	s_or_b32 exec_lo, exec_lo, s1
	s_and_saveexec_b32 s1, s0
	s_cbranch_execnz .LBB15_42
.LBB15_5:
	s_endpgm
.LBB15_6:
	s_load_dwordx2 s[4:5], s[4:5], 0x38
	s_ashr_i32 s20, s17, 31
	v_ashrrev_i32_e32 v2, 31, v1
	s_mul_hi_u32 s6, s0, s17
	s_mul_i32 s7, s0, s20
	s_mul_i32 s22, s0, s17
	s_mov_b32 s21, s17
	s_add_i32 s23, s6, s7
	s_ashr_i32 s17, s16, 31
	s_cmp_lg_u64 s[2:3], 0
	v_lshlrev_b64 v[4:5], 3, v[1:2]
	v_mad_u64_u32 v[2:3], null, s22, s16, v[1:2]
	s_mul_i32 s6, s18, s1
	s_cselect_b32 s18, -1, 0
	s_lshl_b64 s[24:25], s[22:23], 3
	v_mov_b32_e32 v10, 0
	s_waitcnt lgkmcnt(0)
	s_add_u32 s0, s14, s24
	s_addc_u32 s7, s15, s25
	v_add_co_u32 v4, vcc_lo, s0, v4
	s_mul_i32 s0, s22, s17
	s_mul_i32 s14, s23, s16
	v_add_co_ci_u32_e64 v5, null, s7, v5, vcc_lo
	v_add3_u32 v3, s0, s14, v3
	v_mov_b32_e32 v11, 0
	s_ashr_i32 s7, s6, 31
	s_mov_b32 s24, 0
	s_lshl_b64 s[14:15], s[6:7], 3
                                        ; implicit-def: $sgpr23
                                        ; implicit-def: $sgpr22
	s_branch .LBB15_8
.LBB15_7:                               ;   in Loop: Header=BB15_8 Depth=1
	s_or_b32 exec_lo, exec_lo, s25
	s_xor_b32 s0, s27, -1
	s_xor_b32 s25, s26, -1
	s_and_b32 s26, exec_lo, s28
	s_or_b32 s24, s26, s24
	s_andn2_b32 s22, s22, exec_lo
	s_and_b32 s0, s0, exec_lo
	s_andn2_b32 s23, s23, exec_lo
	s_and_b32 s25, s25, exec_lo
	s_or_b32 s22, s22, s0
	s_or_b32 s23, s23, s25
	s_andn2_b32 exec_lo, exec_lo, s24
	s_cbranch_execz .LBB15_19
.LBB15_8:                               ; =>This Inner Loop Header: Depth=1
	global_load_dwordx2 v[6:7], v[4:5], off
	s_mov_b32 s0, -1
	s_mov_b32 s25, exec_lo
                                        ; implicit-def: $sgpr26
                                        ; implicit-def: $sgpr27
	s_waitcnt vmcnt(0)
	v_cmpx_ne_u64_e64 s[4:5], v[6:7]
	s_cbranch_execz .LBB15_17
; %bb.9:                                ;   in Loop: Header=BB15_8 Depth=1
	v_cmp_lt_i64_e32 vcc_lo, -1, v[6:7]
	v_cmp_gt_i64_e64 s0, s[16:17], v[6:7]
	s_mov_b32 s26, -1
	s_mov_b32 s28, 0
	s_mov_b32 s27, 0
	s_and_b32 s29, vcc_lo, s0
	s_and_saveexec_b32 s0, s29
	s_cbranch_execz .LBB15_16
; %bb.10:                               ;   in Loop: Header=BB15_8 Depth=1
	s_andn2_b32 vcc_lo, exec_lo, s18
	s_cbranch_vccnz .LBB15_12
; %bb.11:                               ;   in Loop: Header=BB15_8 Depth=1
	v_lshlrev_b64 v[8:9], 1, v[6:7]
	v_add_co_u32 v8, vcc_lo, s2, v8
	v_add_co_ci_u32_e64 v9, null, s3, v9, vcc_lo
	global_load_ushort v8, v[8:9], off
	s_waitcnt vmcnt(0)
	v_lshlrev_b32_e32 v12, 16, v8
	s_branch .LBB15_13
.LBB15_12:                              ;   in Loop: Header=BB15_8 Depth=1
	v_mov_b32_e32 v12, 1.0
.LBB15_13:                              ;   in Loop: Header=BB15_8 Depth=1
	v_mad_u64_u32 v[8:9], null, v6, s21, v[2:3]
	v_mul_lo_u32 v6, v6, s20
	v_mul_lo_u32 v7, v7, s21
	s_mov_b32 s26, exec_lo
	v_add3_u32 v9, v7, v9, v6
	v_cmpx_lt_i64_e32 -1, v[8:9]
	s_cbranch_execz .LBB15_15
; %bb.14:                               ;   in Loop: Header=BB15_8 Depth=1
	v_lshlrev_b64 v[6:7], 1, v[8:9]
	v_add_f32_e32 v11, v11, v12
	s_mov_b32 s28, exec_lo
	v_add_co_u32 v6, vcc_lo, s12, v6
	v_add_co_ci_u32_e64 v7, null, s13, v7, vcc_lo
	global_load_ushort v6, v[6:7], off
	s_waitcnt vmcnt(0)
	v_lshlrev_b32_e32 v6, 16, v6
	v_mul_f32_e32 v6, v12, v6
	v_bfe_u32 v7, v6, 16, 1
	v_cmp_o_f32_e32 vcc_lo, v6, v6
	v_add3_u32 v7, v6, v7, 0x7fff
	v_and_b32_e32 v7, 0xffff0000, v7
	v_cndmask_b32_e32 v6, 0x7fc00000, v7, vcc_lo
	v_sub_f32_e32 v10, v10, v6
.LBB15_15:                              ;   in Loop: Header=BB15_8 Depth=1
	s_or_b32 exec_lo, exec_lo, s26
	s_mov_b32 s27, exec_lo
	s_xor_b32 s26, exec_lo, -1
	s_and_b32 s28, s28, exec_lo
.LBB15_16:                              ;   in Loop: Header=BB15_8 Depth=1
	s_or_b32 exec_lo, exec_lo, s0
	s_orn2_b32 s0, s28, exec_lo
.LBB15_17:                              ;   in Loop: Header=BB15_8 Depth=1
	s_or_b32 exec_lo, exec_lo, s25
	s_mov_b32 s28, -1
	s_and_saveexec_b32 s25, s0
	s_cbranch_execz .LBB15_7
; %bb.18:                               ;   in Loop: Header=BB15_8 Depth=1
	v_add_nc_u32_e32 v1, s6, v1
	v_add_co_u32 v4, vcc_lo, v4, s14
	v_add_co_ci_u32_e64 v5, null, s15, v5, vcc_lo
	v_cmp_le_i32_e32 vcc_lo, s21, v1
	v_add_co_u32 v2, s0, v2, s6
	v_add_co_ci_u32_e64 v3, null, s7, v3, s0
	s_andn2_b32 s27, s27, exec_lo
	s_andn2_b32 s26, s26, exec_lo
	s_orn2_b32 s28, vcc_lo, exec_lo
	s_branch .LBB15_7
.LBB15_19:
	s_or_b32 exec_lo, exec_lo, s24
	v_mov_b32_e32 v2, 0
	v_mov_b32_e32 v4, 0
	s_mov_b32 s2, 0
	s_mov_b32 s4, -1
	s_mov_b32 s0, 0
	s_and_saveexec_b32 s3, s23
	s_xor_b32 s3, exec_lo, s3
; %bb.20:
	v_mov_b32_e32 v2, v10
	v_mov_b32_e32 v4, v11
	s_mov_b32 s0, exec_lo
	s_xor_b32 s4, exec_lo, -1
	s_and_b32 s2, s22, exec_lo
; %bb.21:
	s_or_b32 exec_lo, exec_lo, s3
	s_and_b32 s6, s4, exec_lo
	s_and_b32 s7, s0, exec_lo
	s_orn2_b32 s20, s2, exec_lo
	s_or_b32 exec_lo, exec_lo, s19
	s_and_saveexec_b32 s0, s20
	s_xor_b32 s4, exec_lo, s0
	s_cbranch_execz .LBB15_2
.LBB15_22:
	v_mbcnt_lo_u32_b32 v6, -1, 0
	s_waitcnt lgkmcnt(0)
	s_barrier
	buffer_gl0_inv
	v_lshl_or_b32 v1, v6, 2, 64
	v_cmp_gt_u32_e32 vcc_lo, 24, v6
	ds_bpermute_b32 v5, v1, v4
	v_cndmask_b32_e64 v3, 0, 8, vcc_lo
	v_cmp_gt_u32_e32 vcc_lo, 28, v6
	v_add_lshl_u32 v3, v3, v6, 2
	s_waitcnt lgkmcnt(0)
	v_add_f32_e32 v5, v4, v5
	v_cndmask_b32_e64 v4, 0, 4, vcc_lo
	v_cmp_gt_u32_e32 vcc_lo, 30, v6
	ds_bpermute_b32 v7, v3, v5
	v_add_lshl_u32 v4, v4, v6, 2
	s_waitcnt lgkmcnt(0)
	v_add_f32_e32 v7, v5, v7
	v_cndmask_b32_e64 v5, 0, 2, vcc_lo
	v_cmp_ne_u32_e32 vcc_lo, 31, v6
	ds_bpermute_b32 v8, v4, v7
	v_add_lshl_u32 v5, v5, v6, 2
	v_add_co_ci_u32_e64 v9, null, 0, v6, vcc_lo
	s_waitcnt lgkmcnt(0)
	v_add_f32_e32 v7, v7, v8
	ds_bpermute_b32 v8, v5, v7
	s_waitcnt lgkmcnt(0)
	v_add_f32_e32 v6, v7, v8
	v_lshlrev_b32_e32 v7, 2, v9
	v_and_b32_e32 v9, 31, v0
	v_lshrrev_b32_e32 v8, 3, v0
	ds_bpermute_b32 v10, v7, v6
	v_cmp_eq_u32_e32 vcc_lo, 0, v9
	s_and_saveexec_b32 s0, vcc_lo
	s_cbranch_execz .LBB15_24
; %bb.23:
	s_waitcnt lgkmcnt(0)
	v_add_f32_e32 v6, v6, v10
	ds_write_b32 v8, v6 offset:4096
.LBB15_24:
	s_or_b32 exec_lo, exec_lo, s0
	s_lshr_b32 s0, s1, 5
	v_mov_b32_e32 v6, 0
	v_cmp_gt_u32_e64 s0, s0, v0
	v_lshlrev_b32_e32 v9, 2, v9
	s_waitcnt lgkmcnt(0)
	s_barrier
	buffer_gl0_inv
	s_and_saveexec_b32 s1, s0
; %bb.25:
	ds_read_b32 v6, v9 offset:4096
; %bb.26:
	s_or_b32 exec_lo, exec_lo, s1
	v_cmp_gt_u32_e64 s1, 32, v0
	s_and_saveexec_b32 s2, s1
	s_cbranch_execz .LBB15_28
; %bb.27:
	s_waitcnt lgkmcnt(0)
	ds_bpermute_b32 v10, v1, v6
	s_waitcnt lgkmcnt(0)
	v_add_f32_e32 v6, v6, v10
	ds_bpermute_b32 v10, v3, v6
	s_waitcnt lgkmcnt(0)
	v_add_f32_e32 v6, v6, v10
	ds_bpermute_b32 v10, v4, v6
	s_waitcnt lgkmcnt(0)
	v_add_f32_e32 v6, v6, v10
	ds_bpermute_b32 v10, v5, v6
	s_waitcnt lgkmcnt(0)
	v_add_f32_e32 v6, v6, v10
	ds_bpermute_b32 v10, v7, v6
	s_waitcnt lgkmcnt(0)
	v_add_f32_e32 v6, v6, v10
.LBB15_28:
	s_or_b32 exec_lo, exec_lo, s2
	ds_bpermute_b32 v10, v1, v2
	s_waitcnt lgkmcnt(0)
	s_barrier
	buffer_gl0_inv
	v_add_f32_e32 v2, v2, v10
	ds_bpermute_b32 v10, v3, v2
	s_waitcnt lgkmcnt(0)
	v_add_f32_e32 v2, v2, v10
	ds_bpermute_b32 v10, v4, v2
	s_waitcnt lgkmcnt(0)
	;; [unrolled: 3-line block ×3, first 2 shown]
	v_add_f32_e32 v2, v2, v10
	ds_bpermute_b32 v10, v7, v2
	s_and_saveexec_b32 s2, vcc_lo
	s_cbranch_execz .LBB15_30
; %bb.29:
	s_waitcnt lgkmcnt(0)
	v_add_f32_e32 v2, v2, v10
	ds_write_b32 v8, v2
.LBB15_30:
	s_or_b32 exec_lo, exec_lo, s2
	v_mov_b32_e32 v2, 0
	s_waitcnt lgkmcnt(0)
	s_barrier
	buffer_gl0_inv
	s_and_saveexec_b32 s2, s0
; %bb.31:
	ds_read_b32 v2, v9
; %bb.32:
	s_or_b32 exec_lo, exec_lo, s2
	s_and_saveexec_b32 s0, s1
	s_cbranch_execz .LBB15_34
; %bb.33:
	s_waitcnt lgkmcnt(0)
	ds_bpermute_b32 v1, v1, v2
	s_waitcnt lgkmcnt(0)
	v_add_f32_e32 v1, v2, v1
	ds_bpermute_b32 v2, v3, v1
	s_waitcnt lgkmcnt(0)
	v_add_f32_e32 v1, v1, v2
	;; [unrolled: 3-line block ×5, first 2 shown]
.LBB15_34:
	s_or_b32 exec_lo, exec_lo, s0
	s_mov_b32 s1, 0
	s_mov_b32 s5, exec_lo
	v_cmpx_eq_u32_e32 0, v0
	s_cbranch_execz .LBB15_39
; %bb.35:
	s_and_b32 s0, s10, 2
	v_bfe_u32 v0, v6, 16, 1
	s_sub_u32 s2, 0, s0
	s_subb_u32 s3, 0, 0
	s_add_u32 s2, s10, s2
	s_addc_u32 s3, s11, s3
	v_add3_u32 v0, v6, v0, 0x7fff
	s_load_dword s10, s[2:3], 0x0
	v_cmp_o_f32_e32 vcc_lo, v6, v6
	v_mov_b32_e32 v3, 0
	v_mov_b32_e32 v5, 0x7fc0
	v_and_b32_e32 v0, 0xffff0000, v0
	s_cmp_eq_u64 s[0:1], 0
	s_cselect_b32 s0, -1, 0
	v_cndmask_b32_e32 v4, 0x7fc00000, v0, vcc_lo
	s_waitcnt lgkmcnt(0)
	v_mov_b32_e32 v1, s10
	.p2align	6
.LBB15_36:                              ; =>This Inner Loop Header: Depth=1
	v_and_b32_e32 v0, 0xffff, v1
	s_mov_b32 vcc_lo, s0
	v_cndmask_b32_sdwa v6, v1, v0, vcc_lo dst_sel:WORD_1 dst_unused:UNUSED_PAD src0_sel:WORD_1 src1_sel:DWORD
	v_add_f32_e32 v6, v4, v6
	v_bfe_u32 v7, v6, 16, 1
	v_cmp_o_f32_e32 vcc_lo, v6, v6
	v_add3_u32 v6, v6, v7, 0x7fff
	v_cndmask_b32_sdwa v6, v5, v6, vcc_lo dst_sel:DWORD dst_unused:UNUSED_PAD src0_sel:DWORD src1_sel:WORD_1
	v_lshl_or_b32 v0, v6, 16, v0
	v_and_or_b32 v6, 0xffff0000, v1, v6
	v_cndmask_b32_e64 v0, v0, v6, s0
	global_atomic_cmpswap v0, v3, v[0:1], s[2:3] glc
	s_waitcnt vmcnt(0)
	v_cmp_eq_u32_e32 vcc_lo, v1, v0
	v_mov_b32_e32 v1, v0
	s_or_b32 s1, vcc_lo, s1
	s_andn2_b32 exec_lo, exec_lo, s1
	s_cbranch_execnz .LBB15_36
; %bb.37:
	s_or_b32 exec_lo, exec_lo, s1
	s_and_b32 s0, s8, 2
	v_mov_b32_e32 v3, 0
	s_sub_u32 s1, 0, s0
	s_subb_u32 s3, 0, 0
	s_add_u32 s2, s8, s1
	s_addc_u32 s3, s9, s3
	v_bfe_u32 v0, v2, 16, 1
	global_load_dword v1, v3, s[2:3]
	v_cmp_o_f32_e32 vcc_lo, v2, v2
	s_mov_b32 s1, 0
	v_mov_b32_e32 v4, 0x7fc0
	v_add3_u32 v0, v2, v0, 0x7fff
	s_cmp_eq_u64 s[0:1], 0
	s_cselect_b32 s0, -1, 0
	v_and_b32_e32 v0, 0xffff0000, v0
	v_cndmask_b32_e32 v2, 0x7fc00000, v0, vcc_lo
	.p2align	6
.LBB15_38:                              ; =>This Inner Loop Header: Depth=1
	s_waitcnt vmcnt(0)
	v_and_b32_e32 v0, 0xffff, v1
	s_mov_b32 vcc_lo, s0
	v_cndmask_b32_sdwa v5, v1, v0, vcc_lo dst_sel:WORD_1 dst_unused:UNUSED_PAD src0_sel:WORD_1 src1_sel:DWORD
	v_add_f32_e32 v5, v2, v5
	v_bfe_u32 v6, v5, 16, 1
	v_cmp_o_f32_e32 vcc_lo, v5, v5
	v_add3_u32 v5, v5, v6, 0x7fff
	v_cndmask_b32_sdwa v5, v4, v5, vcc_lo dst_sel:DWORD dst_unused:UNUSED_PAD src0_sel:DWORD src1_sel:WORD_1
	v_lshl_or_b32 v0, v5, 16, v0
	v_and_or_b32 v5, 0xffff0000, v1, v5
	v_cndmask_b32_e64 v0, v0, v5, s0
	global_atomic_cmpswap v0, v3, v[0:1], s[2:3] glc
	s_waitcnt vmcnt(0)
	v_cmp_eq_u32_e32 vcc_lo, v1, v0
	v_mov_b32_e32 v1, v0
	s_or_b32 s1, vcc_lo, s1
	s_andn2_b32 exec_lo, exec_lo, s1
	s_cbranch_execnz .LBB15_38
.LBB15_39:
	s_or_b32 exec_lo, exec_lo, s5
	s_andn2_b32 s7, s7, exec_lo
	s_or_b32 exec_lo, exec_lo, s4
	s_mov_b32 s0, 0
	s_and_saveexec_b32 s1, s7
	s_cbranch_execz .LBB15_3
.LBB15_40:
	s_mov_b32 s0, exec_lo
	s_trap 2
	s_or_b32 exec_lo, exec_lo, s1
	s_and_saveexec_b32 s1, s6
	s_cbranch_execz .LBB15_4
.LBB15_41:
	s_or_b32 s0, s0, exec_lo
	s_trap 2
	s_or_b32 exec_lo, exec_lo, s1
	s_and_saveexec_b32 s1, s0
	s_cbranch_execz .LBB15_5
.LBB15_42:
	; divergent unreachable
	s_endpgm
	.section	.rodata,"a",@progbits
	.p2align	6, 0x0
	.amdhsa_kernel _ZN2at6native12_GLOBAL__N_125nll_loss2d_forward_kernelIN3c108BFloat16EflEEvPT_S6_PKS5_PKlS8_iiil
		.amdhsa_group_segment_fixed_size 8192
		.amdhsa_private_segment_fixed_size 0
		.amdhsa_kernarg_size 320
		.amdhsa_user_sgpr_count 6
		.amdhsa_user_sgpr_private_segment_buffer 1
		.amdhsa_user_sgpr_dispatch_ptr 0
		.amdhsa_user_sgpr_queue_ptr 0
		.amdhsa_user_sgpr_kernarg_segment_ptr 1
		.amdhsa_user_sgpr_dispatch_id 0
		.amdhsa_user_sgpr_flat_scratch_init 0
		.amdhsa_user_sgpr_private_segment_size 0
		.amdhsa_wavefront_size32 1
		.amdhsa_uses_dynamic_stack 0
		.amdhsa_system_sgpr_private_segment_wavefront_offset 0
		.amdhsa_system_sgpr_workgroup_id_x 1
		.amdhsa_system_sgpr_workgroup_id_y 0
		.amdhsa_system_sgpr_workgroup_id_z 0
		.amdhsa_system_sgpr_workgroup_info 0
		.amdhsa_system_vgpr_workitem_id 0
		.amdhsa_next_free_vgpr 13
		.amdhsa_next_free_sgpr 30
		.amdhsa_reserve_vcc 1
		.amdhsa_reserve_flat_scratch 0
		.amdhsa_float_round_mode_32 0
		.amdhsa_float_round_mode_16_64 0
		.amdhsa_float_denorm_mode_32 3
		.amdhsa_float_denorm_mode_16_64 3
		.amdhsa_dx10_clamp 1
		.amdhsa_ieee_mode 1
		.amdhsa_fp16_overflow 0
		.amdhsa_workgroup_processor_mode 1
		.amdhsa_memory_ordered 1
		.amdhsa_forward_progress 1
		.amdhsa_shared_vgpr_count 0
		.amdhsa_exception_fp_ieee_invalid_op 0
		.amdhsa_exception_fp_denorm_src 0
		.amdhsa_exception_fp_ieee_div_zero 0
		.amdhsa_exception_fp_ieee_overflow 0
		.amdhsa_exception_fp_ieee_underflow 0
		.amdhsa_exception_fp_ieee_inexact 0
		.amdhsa_exception_int_div_zero 0
	.end_amdhsa_kernel
	.section	.text._ZN2at6native12_GLOBAL__N_125nll_loss2d_forward_kernelIN3c108BFloat16EflEEvPT_S6_PKS5_PKlS8_iiil,"axG",@progbits,_ZN2at6native12_GLOBAL__N_125nll_loss2d_forward_kernelIN3c108BFloat16EflEEvPT_S6_PKS5_PKlS8_iiil,comdat
.Lfunc_end15:
	.size	_ZN2at6native12_GLOBAL__N_125nll_loss2d_forward_kernelIN3c108BFloat16EflEEvPT_S6_PKS5_PKlS8_iiil, .Lfunc_end15-_ZN2at6native12_GLOBAL__N_125nll_loss2d_forward_kernelIN3c108BFloat16EflEEvPT_S6_PKS5_PKlS8_iiil
                                        ; -- End function
	.set _ZN2at6native12_GLOBAL__N_125nll_loss2d_forward_kernelIN3c108BFloat16EflEEvPT_S6_PKS5_PKlS8_iiil.num_vgpr, 13
	.set _ZN2at6native12_GLOBAL__N_125nll_loss2d_forward_kernelIN3c108BFloat16EflEEvPT_S6_PKS5_PKlS8_iiil.num_agpr, 0
	.set _ZN2at6native12_GLOBAL__N_125nll_loss2d_forward_kernelIN3c108BFloat16EflEEvPT_S6_PKS5_PKlS8_iiil.numbered_sgpr, 30
	.set _ZN2at6native12_GLOBAL__N_125nll_loss2d_forward_kernelIN3c108BFloat16EflEEvPT_S6_PKS5_PKlS8_iiil.num_named_barrier, 0
	.set _ZN2at6native12_GLOBAL__N_125nll_loss2d_forward_kernelIN3c108BFloat16EflEEvPT_S6_PKS5_PKlS8_iiil.private_seg_size, 0
	.set _ZN2at6native12_GLOBAL__N_125nll_loss2d_forward_kernelIN3c108BFloat16EflEEvPT_S6_PKS5_PKlS8_iiil.uses_vcc, 1
	.set _ZN2at6native12_GLOBAL__N_125nll_loss2d_forward_kernelIN3c108BFloat16EflEEvPT_S6_PKS5_PKlS8_iiil.uses_flat_scratch, 0
	.set _ZN2at6native12_GLOBAL__N_125nll_loss2d_forward_kernelIN3c108BFloat16EflEEvPT_S6_PKS5_PKlS8_iiil.has_dyn_sized_stack, 0
	.set _ZN2at6native12_GLOBAL__N_125nll_loss2d_forward_kernelIN3c108BFloat16EflEEvPT_S6_PKS5_PKlS8_iiil.has_recursion, 0
	.set _ZN2at6native12_GLOBAL__N_125nll_loss2d_forward_kernelIN3c108BFloat16EflEEvPT_S6_PKS5_PKlS8_iiil.has_indirect_call, 0
	.section	.AMDGPU.csdata,"",@progbits
; Kernel info:
; codeLenInByte = 2108
; TotalNumSgprs: 32
; NumVgprs: 13
; ScratchSize: 0
; MemoryBound: 0
; FloatMode: 240
; IeeeMode: 1
; LDSByteSize: 8192 bytes/workgroup (compile time only)
; SGPRBlocks: 0
; VGPRBlocks: 1
; NumSGPRsForWavesPerEU: 32
; NumVGPRsForWavesPerEU: 13
; Occupancy: 16
; WaveLimiterHint : 1
; COMPUTE_PGM_RSRC2:SCRATCH_EN: 0
; COMPUTE_PGM_RSRC2:USER_SGPR: 6
; COMPUTE_PGM_RSRC2:TRAP_HANDLER: 0
; COMPUTE_PGM_RSRC2:TGID_X_EN: 1
; COMPUTE_PGM_RSRC2:TGID_Y_EN: 0
; COMPUTE_PGM_RSRC2:TGID_Z_EN: 0
; COMPUTE_PGM_RSRC2:TIDIG_COMP_CNT: 0
	.section	.text._ZN2at6native12_GLOBAL__N_136nll_loss2d_backward_no_reduce_kernelIdEEvlN5torch10headeronly6detail27GenericPackedTensorAccessorINS5_14TensorAccessorIN3c108ArrayRefIlEElLm2ENS4_16DefaultPtrTraitsElEENS_6detail16IndexBoundsCheckILm3ElEElLm3ESB_lEENS6_INS7_ISA_T_Lm2ESB_lEESF_SH_Lm3ESB_lEENS6_INS7_ISA_SH_Lm3ESB_lEENSE_ILm4ElEESH_Lm4ESB_lEEPKSH_l,"axG",@progbits,_ZN2at6native12_GLOBAL__N_136nll_loss2d_backward_no_reduce_kernelIdEEvlN5torch10headeronly6detail27GenericPackedTensorAccessorINS5_14TensorAccessorIN3c108ArrayRefIlEElLm2ENS4_16DefaultPtrTraitsElEENS_6detail16IndexBoundsCheckILm3ElEElLm3ESB_lEENS6_INS7_ISA_T_Lm2ESB_lEESF_SH_Lm3ESB_lEENS6_INS7_ISA_SH_Lm3ESB_lEENSE_ILm4ElEESH_Lm4ESB_lEEPKSH_l,comdat
	.globl	_ZN2at6native12_GLOBAL__N_136nll_loss2d_backward_no_reduce_kernelIdEEvlN5torch10headeronly6detail27GenericPackedTensorAccessorINS5_14TensorAccessorIN3c108ArrayRefIlEElLm2ENS4_16DefaultPtrTraitsElEENS_6detail16IndexBoundsCheckILm3ElEElLm3ESB_lEENS6_INS7_ISA_T_Lm2ESB_lEESF_SH_Lm3ESB_lEENS6_INS7_ISA_SH_Lm3ESB_lEENSE_ILm4ElEESH_Lm4ESB_lEEPKSH_l ; -- Begin function _ZN2at6native12_GLOBAL__N_136nll_loss2d_backward_no_reduce_kernelIdEEvlN5torch10headeronly6detail27GenericPackedTensorAccessorINS5_14TensorAccessorIN3c108ArrayRefIlEElLm2ENS4_16DefaultPtrTraitsElEENS_6detail16IndexBoundsCheckILm3ElEElLm3ESB_lEENS6_INS7_ISA_T_Lm2ESB_lEESF_SH_Lm3ESB_lEENS6_INS7_ISA_SH_Lm3ESB_lEENSE_ILm4ElEESH_Lm4ESB_lEEPKSH_l
	.p2align	8
	.type	_ZN2at6native12_GLOBAL__N_136nll_loss2d_backward_no_reduce_kernelIdEEvlN5torch10headeronly6detail27GenericPackedTensorAccessorINS5_14TensorAccessorIN3c108ArrayRefIlEElLm2ENS4_16DefaultPtrTraitsElEENS_6detail16IndexBoundsCheckILm3ElEElLm3ESB_lEENS6_INS7_ISA_T_Lm2ESB_lEESF_SH_Lm3ESB_lEENS6_INS7_ISA_SH_Lm3ESB_lEENSE_ILm4ElEESH_Lm4ESB_lEEPKSH_l,@function
_ZN2at6native12_GLOBAL__N_136nll_loss2d_backward_no_reduce_kernelIdEEvlN5torch10headeronly6detail27GenericPackedTensorAccessorINS5_14TensorAccessorIN3c108ArrayRefIlEElLm2ENS4_16DefaultPtrTraitsElEENS_6detail16IndexBoundsCheckILm3ElEElLm3ESB_lEENS6_INS7_ISA_T_Lm2ESB_lEESF_SH_Lm3ESB_lEENS6_INS7_ISA_SH_Lm3ESB_lEENSE_ILm4ElEESH_Lm4ESB_lEEPKSH_l: ; @_ZN2at6native12_GLOBAL__N_136nll_loss2d_backward_no_reduce_kernelIdEEvlN5torch10headeronly6detail27GenericPackedTensorAccessorINS5_14TensorAccessorIN3c108ArrayRefIlEElLm2ENS4_16DefaultPtrTraitsElEENS_6detail16IndexBoundsCheckILm3ElEElLm3ESB_lEENS6_INS7_ISA_T_Lm2ESB_lEESF_SH_Lm3ESB_lEENS6_INS7_ISA_SH_Lm3ESB_lEENSE_ILm4ElEESH_Lm4ESB_lEEPKSH_l
; %bb.0:
	s_clause 0x1
	s_load_dword s7, s[4:5], 0xdc
	s_load_dwordx2 s[2:3], s[4:5], 0x0
	v_mov_b32_e32 v2, 0
	s_add_u32 s0, s4, 0xd0
	s_addc_u32 s1, s5, 0
	v_mov_b32_e32 v1, v2
	s_waitcnt lgkmcnt(0)
	s_and_b32 s46, s7, 0xffff
	v_mad_u64_u32 v[0:1], null, s46, s6, v[0:1]
	s_mov_b32 s6, exec_lo
	v_cmpx_gt_i64_e64 s[2:3], v[0:1]
	s_cbranch_execz .LBB16_29
; %bb.1:
	s_clause 0x1
	s_load_dwordx4 s[36:39], s[4:5], 0x10
	s_load_dwordx4 s[40:43], s[4:5], 0xc0
	s_load_dword s0, s[0:1], 0x0
	s_clause 0x5
	s_load_dwordx2 s[6:7], s[4:5], 0x8
	s_load_dwordx2 s[34:35], s[4:5], 0x20
	s_load_dwordx8 s[8:15], s[4:5], 0x28
	s_load_dwordx2 s[44:45], s[4:5], 0x88
	s_load_dwordx8 s[16:23], s[4:5], 0x60
	s_load_dwordx8 s[24:31], s[4:5], 0xa0
	s_mov_b32 s52, 0
                                        ; implicit-def: $sgpr54
                                        ; implicit-def: $sgpr55
	s_waitcnt lgkmcnt(0)
	v_cvt_f32_u32_e32 v3, s36
	s_mul_i32 s4, s38, s37
	s_mul_hi_u32 s5, s38, s36
	s_mul_i32 s33, s39, s36
	s_add_i32 s4, s5, s4
	v_rcp_iflag_f32_e32 v4, v3
	v_mov_b32_e32 v3, v0
	s_add_i32 s33, s4, s33
	s_cmp_lg_u64 s[40:41], 0
	s_mul_i32 s50, s0, s46
	s_mul_i32 s1, s38, s36
	s_cselect_b32 s51, -1, 0
	s_mov_b32 s53, s50
	s_ashr_i32 s4, s37, 31
	v_mul_f32_e32 v4, 0x4f7ffffe, v4
	v_cvt_u32_f32_e32 v14, v4
	v_mov_b32_e32 v5, v3
	v_mov_b32_e32 v4, v2
	s_branch .LBB16_3
.LBB16_2:                               ;   in Loop: Header=BB16_3 Depth=1
	s_or_b32 exec_lo, exec_lo, s46
	s_and_b32 s0, exec_lo, s5
	s_or_b32 s52, s0, s52
	s_andn2_b32 s0, s54, exec_lo
	s_and_b32 s5, s55, exec_lo
	s_or_b32 s54, s0, s5
	s_andn2_b32 exec_lo, exec_lo, s52
	s_cbranch_execz .LBB16_28
.LBB16_3:                               ; =>This Inner Loop Header: Depth=1
	v_ashrrev_i32_e32 v15, 31, v5
	v_mov_b32_e32 v16, v5
                                        ; implicit-def: $vgpr6_vgpr7
	s_mov_b32 s0, exec_lo
	v_or_b32_e32 v3, s37, v15
	v_ashrrev_i32_e32 v10, 31, v15
	v_cmpx_ne_u64_e32 0, v[2:3]
	s_xor_b32 s48, exec_lo, s0
	s_cbranch_execz .LBB16_5
; %bb.4:                                ;   in Loop: Header=BB16_3 Depth=1
	s_add_u32 s46, s36, s4
	s_mov_b32 s5, s4
	s_addc_u32 s47, s37, s4
	v_add_co_u32 v7, vcc_lo, v16, v10
	s_xor_b64 s[46:47], s[46:47], s[4:5]
	v_add_co_ci_u32_e64 v8, null, v15, v10, vcc_lo
	v_cvt_f32_u32_e32 v3, s46
	v_cvt_f32_u32_e32 v6, s47
	s_sub_u32 s49, 0, s46
	s_subb_u32 s56, 0, s47
	v_xor_b32_e32 v13, v8, v10
	v_fmac_f32_e32 v3, 0x4f800000, v6
	v_rcp_f32_e32 v3, v3
	v_mul_f32_e32 v3, 0x5f7ffffc, v3
	v_mul_f32_e32 v6, 0x2f800000, v3
	v_trunc_f32_e32 v6, v6
	v_fmac_f32_e32 v3, 0xcf800000, v6
	v_cvt_u32_f32_e32 v6, v6
	v_cvt_u32_f32_e32 v3, v3
	v_readfirstlane_b32 s0, v6
	v_readfirstlane_b32 s5, v3
	s_mul_i32 s57, s49, s0
	v_xor_b32_e32 v3, v7, v10
	s_mul_hi_u32 s59, s49, s5
	s_mul_i32 s58, s56, s5
	s_add_i32 s57, s59, s57
	s_mul_i32 s60, s49, s5
	s_add_i32 s57, s57, s58
	s_mul_hi_u32 s59, s5, s60
	s_mul_i32 s62, s5, s57
	s_mul_hi_u32 s61, s0, s60
	s_mul_i32 s58, s0, s60
	s_mul_hi_u32 s60, s5, s57
	s_add_u32 s59, s59, s62
	s_addc_u32 s60, 0, s60
	s_mul_hi_u32 s63, s0, s57
	s_add_u32 s58, s59, s58
	s_mul_i32 s57, s0, s57
	s_addc_u32 s58, s60, s61
	s_addc_u32 s59, s63, 0
	s_add_u32 s57, s58, s57
	s_addc_u32 s58, 0, s59
	s_add_u32 s5, s5, s57
	s_cselect_b32 s57, -1, 0
	s_mul_hi_u32 s59, s49, s5
	s_cmp_lg_u32 s57, 0
	s_mul_i32 s57, s49, s5
	s_addc_u32 s0, s0, s58
	s_mul_i32 s56, s56, s5
	s_mul_i32 s49, s49, s0
	s_mul_hi_u32 s58, s5, s57
	s_add_i32 s49, s59, s49
	s_mul_hi_u32 s59, s0, s57
	s_add_i32 s49, s49, s56
	s_mul_i32 s56, s0, s57
	s_mul_i32 s61, s5, s49
	s_mul_hi_u32 s60, s5, s49
	s_add_u32 s58, s58, s61
	s_addc_u32 s60, 0, s60
	s_mul_hi_u32 s57, s0, s49
	s_add_u32 s56, s58, s56
	s_mul_i32 s49, s0, s49
	s_addc_u32 s56, s60, s59
	s_addc_u32 s57, s57, 0
	s_add_u32 s49, s56, s49
	s_addc_u32 s56, 0, s57
	s_add_u32 s5, s5, s49
	s_cselect_b32 s49, -1, 0
	v_mul_hi_u32 v17, v3, s5
	s_cmp_lg_u32 s49, 0
	v_mad_u64_u32 v[8:9], null, v13, s5, 0
	s_addc_u32 s0, s0, s56
	v_mad_u64_u32 v[6:7], null, v3, s0, 0
	v_mad_u64_u32 v[11:12], null, v13, s0, 0
	v_add_co_u32 v6, vcc_lo, v17, v6
	v_add_co_ci_u32_e64 v7, null, 0, v7, vcc_lo
	v_add_co_u32 v6, vcc_lo, v6, v8
	v_add_co_ci_u32_e32 v6, vcc_lo, v7, v9, vcc_lo
	v_add_co_ci_u32_e32 v7, vcc_lo, 0, v12, vcc_lo
	v_add_co_u32 v8, vcc_lo, v6, v11
	v_add_co_ci_u32_e64 v9, null, 0, v7, vcc_lo
	v_mul_lo_u32 v11, s47, v8
	v_mad_u64_u32 v[6:7], null, s46, v8, 0
	v_mul_lo_u32 v12, s46, v9
	v_sub_co_u32 v3, vcc_lo, v3, v6
	v_add3_u32 v7, v7, v12, v11
	v_sub_nc_u32_e32 v11, v13, v7
	v_sub_co_ci_u32_e64 v7, null, v13, v7, vcc_lo
	v_subrev_co_ci_u32_e64 v6, null, s47, v11, vcc_lo
	v_add_co_u32 v11, s0, v8, 2
	v_add_co_ci_u32_e64 v12, null, 0, v9, s0
	v_sub_co_u32 v17, s0, v3, s46
	v_subrev_co_ci_u32_e64 v6, null, 0, v6, s0
	v_cmp_le_u32_e32 vcc_lo, s46, v17
	v_cndmask_b32_e64 v13, 0, -1, vcc_lo
	v_cmp_le_u32_e32 vcc_lo, s47, v6
	v_cndmask_b32_e64 v17, 0, -1, vcc_lo
	;; [unrolled: 2-line block ×4, first 2 shown]
	v_cmp_eq_u32_e32 vcc_lo, s47, v6
	v_cndmask_b32_e32 v6, v17, v13, vcc_lo
	v_add_co_u32 v13, vcc_lo, v8, 1
	v_add_co_ci_u32_e64 v17, null, 0, v9, vcc_lo
	v_cmp_eq_u32_e32 vcc_lo, s47, v7
	v_xor_b32_e32 v7, s4, v10
	v_cndmask_b32_e32 v3, v18, v3, vcc_lo
	v_cmp_ne_u32_e32 vcc_lo, 0, v6
	v_cmp_ne_u32_e64 s0, 0, v3
	v_cndmask_b32_e32 v3, v13, v11, vcc_lo
	v_cndmask_b32_e32 v6, v17, v12, vcc_lo
	v_cndmask_b32_e64 v3, v8, v3, s0
	v_cndmask_b32_e64 v6, v9, v6, s0
	v_xor_b32_e32 v3, v3, v7
	v_xor_b32_e32 v8, v6, v7
	v_sub_co_u32 v6, vcc_lo, v3, v7
	v_sub_co_ci_u32_e64 v7, null, v8, v7, vcc_lo
.LBB16_5:                               ;   in Loop: Header=BB16_3 Depth=1
	s_andn2_saveexec_b32 s0, s48
	s_cbranch_execz .LBB16_7
; %bb.6:                                ;   in Loop: Header=BB16_3 Depth=1
	s_sub_i32 s5, 0, s36
	v_mul_lo_u32 v3, s5, v14
	v_mul_hi_u32 v3, v14, v3
	v_add_nc_u32_e32 v3, v14, v3
	v_mul_hi_u32 v3, v16, v3
	v_mul_lo_u32 v6, v3, s36
	v_add_nc_u32_e32 v7, 1, v3
	v_sub_nc_u32_e32 v6, v16, v6
	v_subrev_nc_u32_e32 v8, s36, v6
	v_cmp_le_u32_e32 vcc_lo, s36, v6
	v_cndmask_b32_e32 v6, v6, v8, vcc_lo
	v_cndmask_b32_e32 v3, v3, v7, vcc_lo
	v_cmp_le_u32_e32 vcc_lo, s36, v6
	v_add_nc_u32_e32 v7, 1, v3
	v_cndmask_b32_e32 v6, v3, v7, vcc_lo
	v_mov_b32_e32 v7, v2
.LBB16_7:                               ;   in Loop: Header=BB16_3 Depth=1
	s_or_b32 exec_lo, exec_lo, s0
	v_or_b32_e32 v3, s39, v7
                                        ; implicit-def: $vgpr8_vgpr9
	s_mov_b32 s0, exec_lo
	v_cmpx_ne_u64_e32 0, v[2:3]
	s_xor_b32 s5, exec_lo, s0
	s_cbranch_execz .LBB16_9
; %bb.8:                                ;   in Loop: Header=BB16_3 Depth=1
	s_ashr_i32 s46, s39, 31
	v_ashrrev_i32_e32 v13, 31, v7
	s_add_u32 s48, s38, s46
	s_mov_b32 s47, s46
	s_addc_u32 s49, s39, s46
	s_xor_b64 s[46:47], s[48:49], s[46:47]
	v_add_co_u32 v9, vcc_lo, v6, v13
	v_cvt_f32_u32_e32 v3, s46
	v_cvt_f32_u32_e32 v8, s47
	s_sub_u32 s49, 0, s46
	s_subb_u32 s56, 0, s47
	v_add_co_ci_u32_e64 v11, null, v7, v13, vcc_lo
	v_fmac_f32_e32 v3, 0x4f800000, v8
	v_xor_b32_e32 v19, v11, v13
	v_rcp_f32_e32 v3, v3
	v_mul_f32_e32 v3, 0x5f7ffffc, v3
	v_mul_f32_e32 v8, 0x2f800000, v3
	v_trunc_f32_e32 v8, v8
	v_fmac_f32_e32 v3, 0xcf800000, v8
	v_cvt_u32_f32_e32 v8, v8
	v_cvt_u32_f32_e32 v3, v3
	v_readfirstlane_b32 s0, v8
	v_readfirstlane_b32 s48, v3
	s_mul_i32 s57, s49, s0
	v_xor_b32_e32 v3, v9, v13
	s_mul_hi_u32 s59, s49, s48
	s_mul_i32 s58, s56, s48
	s_add_i32 s57, s59, s57
	s_mul_i32 s60, s49, s48
	s_add_i32 s57, s57, s58
	s_mul_hi_u32 s59, s48, s60
	s_mul_i32 s62, s48, s57
	s_mul_hi_u32 s61, s0, s60
	s_mul_i32 s58, s0, s60
	s_mul_hi_u32 s60, s48, s57
	s_add_u32 s59, s59, s62
	s_addc_u32 s60, 0, s60
	s_mul_hi_u32 s63, s0, s57
	s_add_u32 s58, s59, s58
	s_mul_i32 s57, s0, s57
	s_addc_u32 s58, s60, s61
	s_addc_u32 s59, s63, 0
	s_add_u32 s57, s58, s57
	s_addc_u32 s58, 0, s59
	s_add_u32 s48, s48, s57
	s_cselect_b32 s57, -1, 0
	s_mul_hi_u32 s59, s49, s48
	s_cmp_lg_u32 s57, 0
	s_mul_i32 s57, s49, s48
	s_addc_u32 s0, s0, s58
	s_mul_i32 s56, s56, s48
	s_mul_i32 s49, s49, s0
	s_mul_hi_u32 s58, s48, s57
	s_add_i32 s49, s59, s49
	s_mul_hi_u32 s59, s0, s57
	s_add_i32 s49, s49, s56
	s_mul_i32 s56, s0, s57
	s_mul_i32 s61, s48, s49
	s_mul_hi_u32 s60, s48, s49
	s_add_u32 s58, s58, s61
	s_addc_u32 s60, 0, s60
	s_mul_hi_u32 s57, s0, s49
	s_add_u32 s56, s58, s56
	s_mul_i32 s49, s0, s49
	s_addc_u32 s56, s60, s59
	s_addc_u32 s57, s57, 0
	s_add_u32 s49, s56, s49
	s_addc_u32 s56, 0, s57
	s_add_u32 s48, s48, s49
	s_cselect_b32 s49, -1, 0
	v_mul_hi_u32 v20, v3, s48
	s_cmp_lg_u32 s49, 0
	v_mad_u64_u32 v[11:12], null, v19, s48, 0
	s_addc_u32 s0, s0, s56
	v_mad_u64_u32 v[8:9], null, v3, s0, 0
	v_mad_u64_u32 v[17:18], null, v19, s0, 0
	v_add_co_u32 v8, vcc_lo, v20, v8
	v_add_co_ci_u32_e64 v9, null, 0, v9, vcc_lo
	v_add_co_u32 v8, vcc_lo, v8, v11
	v_add_co_ci_u32_e32 v8, vcc_lo, v9, v12, vcc_lo
	v_add_co_ci_u32_e32 v9, vcc_lo, 0, v18, vcc_lo
	v_add_co_u32 v8, vcc_lo, v8, v17
	v_add_co_ci_u32_e64 v11, null, 0, v9, vcc_lo
	v_mul_lo_u32 v12, s47, v8
	v_mad_u64_u32 v[8:9], null, s46, v8, 0
	v_mul_lo_u32 v11, s46, v11
	v_sub_co_u32 v3, vcc_lo, v3, v8
	v_add3_u32 v9, v9, v11, v12
	v_cmp_le_u32_e64 s0, s46, v3
	v_sub_nc_u32_e32 v11, v19, v9
	v_sub_co_ci_u32_e64 v9, null, v19, v9, vcc_lo
	v_cndmask_b32_e64 v17, 0, -1, s0
	v_subrev_co_ci_u32_e64 v8, null, s47, v11, vcc_lo
	v_sub_co_u32 v11, vcc_lo, v3, s46
	v_subrev_co_ci_u32_e64 v12, null, 0, v8, vcc_lo
	v_cmp_le_u32_e64 s0, s46, v11
	v_subrev_co_ci_u32_e64 v8, null, s47, v8, vcc_lo
	v_cmp_le_u32_e32 vcc_lo, s47, v9
	v_cndmask_b32_e64 v18, 0, -1, s0
	v_cmp_le_u32_e64 s0, s47, v12
	v_cndmask_b32_e64 v20, 0, -1, vcc_lo
	v_cmp_eq_u32_e32 vcc_lo, s47, v12
	v_cndmask_b32_e64 v19, 0, -1, s0
	v_cmp_eq_u32_e64 s0, s47, v9
	v_cndmask_b32_e32 v18, v19, v18, vcc_lo
	v_sub_co_u32 v19, vcc_lo, v11, s46
	v_subrev_co_ci_u32_e64 v8, null, 0, v8, vcc_lo
	v_cmp_ne_u32_e32 vcc_lo, 0, v18
	v_cndmask_b32_e64 v17, v20, v17, s0
	v_cndmask_b32_e32 v8, v12, v8, vcc_lo
	v_cndmask_b32_e32 v11, v11, v19, vcc_lo
	v_cmp_ne_u32_e32 vcc_lo, 0, v17
	v_cndmask_b32_e32 v3, v3, v11, vcc_lo
	v_cndmask_b32_e32 v8, v9, v8, vcc_lo
	v_xor_b32_e32 v3, v3, v13
	v_xor_b32_e32 v9, v8, v13
	v_sub_co_u32 v8, vcc_lo, v3, v13
	v_sub_co_ci_u32_e64 v9, null, v9, v13, vcc_lo
.LBB16_9:                               ;   in Loop: Header=BB16_3 Depth=1
	s_andn2_saveexec_b32 s0, s5
	s_cbranch_execz .LBB16_11
; %bb.10:                               ;   in Loop: Header=BB16_3 Depth=1
	v_cvt_f32_u32_e32 v3, s38
	s_sub_i32 s5, 0, s38
	v_mov_b32_e32 v9, v2
	v_rcp_iflag_f32_e32 v3, v3
	v_mul_f32_e32 v3, 0x4f7ffffe, v3
	v_cvt_u32_f32_e32 v3, v3
	v_mul_lo_u32 v8, s5, v3
	v_mul_hi_u32 v8, v3, v8
	v_add_nc_u32_e32 v3, v3, v8
	v_mul_hi_u32 v3, v6, v3
	v_mul_lo_u32 v3, v3, s38
	v_sub_nc_u32_e32 v3, v6, v3
	v_subrev_nc_u32_e32 v8, s38, v3
	v_cmp_le_u32_e32 vcc_lo, s38, v3
	v_cndmask_b32_e32 v3, v3, v8, vcc_lo
	v_subrev_nc_u32_e32 v8, s38, v3
	v_cmp_le_u32_e32 vcc_lo, s38, v3
	v_cndmask_b32_e32 v8, v3, v8, vcc_lo
.LBB16_11:                              ;   in Loop: Header=BB16_3 Depth=1
	s_or_b32 exec_lo, exec_lo, s0
	v_or_b32_e32 v3, s33, v15
                                        ; implicit-def: $vgpr12_vgpr13
	s_mov_b32 s0, exec_lo
	v_cmpx_ne_u64_e32 0, v[2:3]
	s_xor_b32 s5, exec_lo, s0
	s_cbranch_execz .LBB16_13
; %bb.12:                               ;   in Loop: Header=BB16_3 Depth=1
	s_ashr_i32 s46, s33, 31
	v_add_co_u32 v12, vcc_lo, v16, v10
	s_add_u32 s48, s1, s46
	s_mov_b32 s47, s46
	s_addc_u32 s49, s33, s46
	v_add_co_ci_u32_e64 v13, null, v15, v10, vcc_lo
	s_xor_b64 s[48:49], s[48:49], s[46:47]
	v_cvt_f32_u32_e32 v3, s48
	v_cvt_f32_u32_e32 v11, s49
	s_sub_u32 s56, 0, s48
	s_subb_u32 s57, 0, s49
	v_xor_b32_e32 v13, v13, v10
	v_fmac_f32_e32 v3, 0x4f800000, v11
	v_rcp_f32_e32 v3, v3
	v_mul_f32_e32 v3, 0x5f7ffffc, v3
	v_mul_f32_e32 v11, 0x2f800000, v3
	v_trunc_f32_e32 v11, v11
	v_fmac_f32_e32 v3, 0xcf800000, v11
	v_cvt_u32_f32_e32 v11, v11
	v_cvt_u32_f32_e32 v3, v3
	v_readfirstlane_b32 s0, v11
	v_readfirstlane_b32 s47, v3
	s_mul_i32 s58, s56, s0
	v_xor_b32_e32 v3, v12, v10
	v_xor_b32_e32 v10, s46, v10
	s_mul_hi_u32 s60, s56, s47
	s_mul_i32 s59, s57, s47
	s_add_i32 s58, s60, s58
	s_mul_i32 s61, s56, s47
	s_add_i32 s58, s58, s59
	s_mul_hi_u32 s60, s47, s61
	s_mul_i32 s63, s47, s58
	s_mul_hi_u32 s62, s0, s61
	s_mul_i32 s59, s0, s61
	s_mul_hi_u32 s61, s47, s58
	s_add_u32 s60, s60, s63
	s_addc_u32 s61, 0, s61
	s_mul_hi_u32 s64, s0, s58
	s_add_u32 s59, s60, s59
	s_mul_i32 s58, s0, s58
	s_addc_u32 s59, s61, s62
	s_addc_u32 s60, s64, 0
	s_add_u32 s58, s59, s58
	s_addc_u32 s59, 0, s60
	s_add_u32 s47, s47, s58
	s_cselect_b32 s58, -1, 0
	s_mul_hi_u32 s60, s56, s47
	s_cmp_lg_u32 s58, 0
	s_mul_i32 s58, s56, s47
	s_addc_u32 s0, s0, s59
	s_mul_i32 s57, s57, s47
	s_mul_i32 s56, s56, s0
	s_mul_hi_u32 s59, s47, s58
	s_add_i32 s56, s60, s56
	s_mul_hi_u32 s60, s0, s58
	s_add_i32 s56, s56, s57
	s_mul_i32 s57, s0, s58
	s_mul_i32 s62, s47, s56
	s_mul_hi_u32 s61, s47, s56
	s_add_u32 s59, s59, s62
	s_addc_u32 s61, 0, s61
	s_mul_hi_u32 s58, s0, s56
	s_add_u32 s57, s59, s57
	s_mul_i32 s56, s0, s56
	s_addc_u32 s57, s61, s60
	s_addc_u32 s58, s58, 0
	s_add_u32 s56, s57, s56
	s_addc_u32 s57, 0, s58
	s_add_u32 s47, s47, s56
	s_cselect_b32 s56, -1, 0
	v_mul_hi_u32 v21, v3, s47
	s_cmp_lg_u32 s56, 0
	v_mad_u64_u32 v[17:18], null, v13, s47, 0
	s_addc_u32 s0, s0, s57
	v_mad_u64_u32 v[11:12], null, v3, s0, 0
	v_mad_u64_u32 v[19:20], null, v13, s0, 0
	v_add_co_u32 v11, vcc_lo, v21, v11
	v_add_co_ci_u32_e64 v12, null, 0, v12, vcc_lo
	v_add_co_u32 v11, vcc_lo, v11, v17
	v_add_co_ci_u32_e32 v11, vcc_lo, v12, v18, vcc_lo
	v_add_co_ci_u32_e32 v12, vcc_lo, 0, v20, vcc_lo
	v_add_co_u32 v17, vcc_lo, v11, v19
	v_add_co_ci_u32_e64 v18, null, 0, v12, vcc_lo
	v_mul_lo_u32 v19, s49, v17
	v_mad_u64_u32 v[11:12], null, s48, v17, 0
	v_mul_lo_u32 v20, s48, v18
	v_sub_co_u32 v3, vcc_lo, v3, v11
	v_add3_u32 v12, v12, v20, v19
	v_sub_nc_u32_e32 v19, v13, v12
	v_sub_co_ci_u32_e64 v12, null, v13, v12, vcc_lo
	v_subrev_co_ci_u32_e64 v11, null, s49, v19, vcc_lo
	v_add_co_u32 v19, s0, v17, 2
	v_add_co_ci_u32_e64 v20, null, 0, v18, s0
	v_sub_co_u32 v21, s0, v3, s48
	v_subrev_co_ci_u32_e64 v11, null, 0, v11, s0
	v_cmp_le_u32_e32 vcc_lo, s48, v21
	v_cndmask_b32_e64 v13, 0, -1, vcc_lo
	v_cmp_le_u32_e32 vcc_lo, s49, v11
	v_cndmask_b32_e64 v21, 0, -1, vcc_lo
	;; [unrolled: 2-line block ×4, first 2 shown]
	v_cmp_eq_u32_e32 vcc_lo, s49, v11
	v_cndmask_b32_e32 v11, v21, v13, vcc_lo
	v_add_co_u32 v13, vcc_lo, v17, 1
	v_add_co_ci_u32_e64 v21, null, 0, v18, vcc_lo
	v_cmp_eq_u32_e32 vcc_lo, s49, v12
	v_cndmask_b32_e32 v3, v22, v3, vcc_lo
	v_cmp_ne_u32_e32 vcc_lo, 0, v11
	v_cmp_ne_u32_e64 s0, 0, v3
	v_cndmask_b32_e32 v3, v13, v19, vcc_lo
	v_cndmask_b32_e32 v11, v21, v20, vcc_lo
	v_cndmask_b32_e64 v3, v17, v3, s0
	v_cndmask_b32_e64 v11, v18, v11, s0
	v_xor_b32_e32 v3, v3, v10
	v_xor_b32_e32 v11, v11, v10
	v_sub_co_u32 v12, vcc_lo, v3, v10
	v_sub_co_ci_u32_e64 v13, null, v11, v10, vcc_lo
.LBB16_13:                              ;   in Loop: Header=BB16_3 Depth=1
	s_andn2_saveexec_b32 s0, s5
	s_cbranch_execz .LBB16_15
; %bb.14:                               ;   in Loop: Header=BB16_3 Depth=1
	v_cvt_f32_u32_e32 v3, s1
	s_sub_i32 s5, 0, s1
	v_mov_b32_e32 v13, v2
	v_rcp_iflag_f32_e32 v3, v3
	v_mul_f32_e32 v3, 0x4f7ffffe, v3
	v_cvt_u32_f32_e32 v3, v3
	v_mul_lo_u32 v10, s5, v3
	v_mul_hi_u32 v10, v3, v10
	v_add_nc_u32_e32 v3, v3, v10
	v_mul_hi_u32 v3, v5, v3
	v_mul_lo_u32 v10, v3, s1
	v_add_nc_u32_e32 v11, 1, v3
	v_sub_nc_u32_e32 v10, v5, v10
	v_subrev_nc_u32_e32 v12, s1, v10
	v_cmp_le_u32_e32 vcc_lo, s1, v10
	v_cndmask_b32_e32 v10, v10, v12, vcc_lo
	v_cndmask_b32_e32 v3, v3, v11, vcc_lo
	v_cmp_le_u32_e32 vcc_lo, s1, v10
	v_add_nc_u32_e32 v11, 1, v3
	v_cndmask_b32_e32 v12, v3, v11, vcc_lo
.LBB16_15:                              ;   in Loop: Header=BB16_3 Depth=1
	s_or_b32 exec_lo, exec_lo, s0
	v_or_b32_e32 v3, s35, v13
                                        ; implicit-def: $vgpr10_vgpr11
	s_mov_b32 s0, exec_lo
	v_cmpx_ne_u64_e32 0, v[2:3]
	s_xor_b32 s5, exec_lo, s0
	s_cbranch_execz .LBB16_17
; %bb.16:                               ;   in Loop: Header=BB16_3 Depth=1
	s_ashr_i32 s46, s35, 31
	v_ashrrev_i32_e32 v19, 31, v13
	s_add_u32 s48, s34, s46
	s_mov_b32 s47, s46
	s_addc_u32 s49, s35, s46
	s_xor_b64 s[46:47], s[48:49], s[46:47]
	v_add_co_u32 v11, vcc_lo, v12, v19
	v_cvt_f32_u32_e32 v3, s46
	v_cvt_f32_u32_e32 v10, s47
	s_sub_u32 s49, 0, s46
	s_subb_u32 s56, 0, s47
	v_add_co_ci_u32_e64 v12, null, v13, v19, vcc_lo
	v_fmac_f32_e32 v3, 0x4f800000, v10
	v_xor_b32_e32 v20, v12, v19
	v_rcp_f32_e32 v3, v3
	v_mul_f32_e32 v3, 0x5f7ffffc, v3
	v_mul_f32_e32 v10, 0x2f800000, v3
	v_trunc_f32_e32 v10, v10
	v_fmac_f32_e32 v3, 0xcf800000, v10
	v_cvt_u32_f32_e32 v10, v10
	v_cvt_u32_f32_e32 v3, v3
	v_readfirstlane_b32 s0, v10
	v_readfirstlane_b32 s48, v3
	s_mul_i32 s57, s49, s0
	v_xor_b32_e32 v3, v11, v19
	s_mul_hi_u32 s59, s49, s48
	s_mul_i32 s58, s56, s48
	s_add_i32 s57, s59, s57
	s_mul_i32 s60, s49, s48
	s_add_i32 s57, s57, s58
	s_mul_hi_u32 s59, s48, s60
	s_mul_i32 s62, s48, s57
	s_mul_hi_u32 s61, s0, s60
	s_mul_i32 s58, s0, s60
	s_mul_hi_u32 s60, s48, s57
	s_add_u32 s59, s59, s62
	s_addc_u32 s60, 0, s60
	s_mul_hi_u32 s63, s0, s57
	s_add_u32 s58, s59, s58
	s_mul_i32 s57, s0, s57
	s_addc_u32 s58, s60, s61
	s_addc_u32 s59, s63, 0
	s_add_u32 s57, s58, s57
	s_addc_u32 s58, 0, s59
	s_add_u32 s48, s48, s57
	s_cselect_b32 s57, -1, 0
	s_mul_hi_u32 s59, s49, s48
	s_cmp_lg_u32 s57, 0
	s_mul_i32 s57, s49, s48
	s_addc_u32 s0, s0, s58
	s_mul_i32 s56, s56, s48
	s_mul_i32 s49, s49, s0
	s_mul_hi_u32 s58, s48, s57
	s_add_i32 s49, s59, s49
	s_mul_hi_u32 s59, s0, s57
	s_add_i32 s49, s49, s56
	s_mul_i32 s56, s0, s57
	s_mul_i32 s61, s48, s49
	s_mul_hi_u32 s60, s48, s49
	s_add_u32 s58, s58, s61
	s_addc_u32 s60, 0, s60
	s_mul_hi_u32 s57, s0, s49
	s_add_u32 s56, s58, s56
	s_mul_i32 s49, s0, s49
	s_addc_u32 s56, s60, s59
	s_addc_u32 s57, s57, 0
	s_add_u32 s49, s56, s49
	s_addc_u32 s56, 0, s57
	s_add_u32 s48, s48, s49
	s_cselect_b32 s49, -1, 0
	v_mul_hi_u32 v21, v3, s48
	s_cmp_lg_u32 s49, 0
	v_mad_u64_u32 v[12:13], null, v20, s48, 0
	s_addc_u32 s0, s0, s56
	v_mad_u64_u32 v[10:11], null, v3, s0, 0
	v_mad_u64_u32 v[17:18], null, v20, s0, 0
	v_add_co_u32 v10, vcc_lo, v21, v10
	v_add_co_ci_u32_e64 v11, null, 0, v11, vcc_lo
	v_add_co_u32 v10, vcc_lo, v10, v12
	v_add_co_ci_u32_e32 v10, vcc_lo, v11, v13, vcc_lo
	v_add_co_ci_u32_e32 v11, vcc_lo, 0, v18, vcc_lo
	v_add_co_u32 v10, vcc_lo, v10, v17
	v_add_co_ci_u32_e64 v12, null, 0, v11, vcc_lo
	v_mul_lo_u32 v13, s47, v10
	v_mad_u64_u32 v[10:11], null, s46, v10, 0
	v_mul_lo_u32 v12, s46, v12
	v_sub_co_u32 v3, vcc_lo, v3, v10
	v_add3_u32 v11, v11, v12, v13
	v_cmp_le_u32_e64 s0, s46, v3
	v_sub_nc_u32_e32 v12, v20, v11
	v_sub_co_ci_u32_e64 v11, null, v20, v11, vcc_lo
	v_cndmask_b32_e64 v17, 0, -1, s0
	v_subrev_co_ci_u32_e64 v10, null, s47, v12, vcc_lo
	v_sub_co_u32 v12, vcc_lo, v3, s46
	v_subrev_co_ci_u32_e64 v13, null, 0, v10, vcc_lo
	v_cmp_le_u32_e64 s0, s46, v12
	v_subrev_co_ci_u32_e64 v10, null, s47, v10, vcc_lo
	v_cmp_le_u32_e32 vcc_lo, s47, v11
	v_cndmask_b32_e64 v18, 0, -1, s0
	v_cmp_le_u32_e64 s0, s47, v13
	v_cndmask_b32_e64 v21, 0, -1, vcc_lo
	v_cmp_eq_u32_e32 vcc_lo, s47, v13
	v_cndmask_b32_e64 v20, 0, -1, s0
	v_cmp_eq_u32_e64 s0, s47, v11
	v_cndmask_b32_e32 v18, v20, v18, vcc_lo
	v_sub_co_u32 v20, vcc_lo, v12, s46
	v_subrev_co_ci_u32_e64 v10, null, 0, v10, vcc_lo
	v_cmp_ne_u32_e32 vcc_lo, 0, v18
	v_cndmask_b32_e64 v17, v21, v17, s0
	v_cndmask_b32_e32 v10, v13, v10, vcc_lo
	v_cndmask_b32_e32 v12, v12, v20, vcc_lo
	v_cmp_ne_u32_e32 vcc_lo, 0, v17
	v_cndmask_b32_e32 v3, v3, v12, vcc_lo
	v_cndmask_b32_e32 v10, v11, v10, vcc_lo
                                        ; implicit-def: $vgpr12_vgpr13
	v_xor_b32_e32 v3, v3, v19
	v_xor_b32_e32 v11, v10, v19
	v_sub_co_u32 v10, vcc_lo, v3, v19
	v_sub_co_ci_u32_e64 v11, null, v11, v19, vcc_lo
.LBB16_17:                              ;   in Loop: Header=BB16_3 Depth=1
	s_andn2_saveexec_b32 s0, s5
	s_cbranch_execz .LBB16_19
; %bb.18:                               ;   in Loop: Header=BB16_3 Depth=1
	v_cvt_f32_u32_e32 v3, s34
	s_sub_i32 s5, 0, s34
	v_mov_b32_e32 v11, v2
	v_rcp_iflag_f32_e32 v3, v3
	v_mul_f32_e32 v3, 0x4f7ffffe, v3
	v_cvt_u32_f32_e32 v3, v3
	v_mul_lo_u32 v10, s5, v3
	v_mul_hi_u32 v10, v3, v10
	v_add_nc_u32_e32 v3, v3, v10
	v_mul_hi_u32 v3, v12, v3
	v_mul_lo_u32 v3, v3, s34
	v_sub_nc_u32_e32 v3, v12, v3
	v_subrev_nc_u32_e32 v10, s34, v3
	v_cmp_le_u32_e32 vcc_lo, s34, v3
	v_cndmask_b32_e32 v3, v3, v10, vcc_lo
	v_subrev_nc_u32_e32 v10, s34, v3
	v_cmp_le_u32_e32 vcc_lo, s34, v3
	v_cndmask_b32_e32 v10, v3, v10, vcc_lo
.LBB16_19:                              ;   in Loop: Header=BB16_3 Depth=1
	s_or_b32 exec_lo, exec_lo, s0
	v_mul_lo_u32 v3, v7, s36
	v_mul_lo_u32 v12, v6, s37
	v_mad_u64_u32 v[6:7], null, v6, s36, 0
	v_mul_lo_u32 v18, s11, v8
	v_mul_lo_u32 v19, s10, v9
	;; [unrolled: 1-line block ×4, first 2 shown]
	s_mov_b32 s5, -1
	s_mov_b32 s0, -1
	v_add3_u32 v7, v7, v12, v3
	v_sub_co_u32 v3, vcc_lo, v16, v6
	v_mad_u64_u32 v[12:13], null, s10, v8, 0
	v_sub_co_ci_u32_e64 v15, null, v15, v7, vcc_lo
	v_mul_lo_u32 v16, s9, v3
	v_mad_u64_u32 v[6:7], null, s8, v3, 0
	v_mul_lo_u32 v17, s8, v15
	v_add3_u32 v13, v13, v19, v18
	s_mov_b32 s46, exec_lo
	v_lshlrev_b64 v[12:13], 3, v[12:13]
	v_add3_u32 v7, v7, v17, v16
	v_mad_u64_u32 v[16:17], null, s12, v10, 0
	v_lshlrev_b64 v[6:7], 3, v[6:7]
	v_add3_u32 v17, v17, v21, v20
	v_add_co_u32 v18, vcc_lo, s6, v6
	v_add_co_ci_u32_e64 v19, null, s7, v7, vcc_lo
	v_lshlrev_b64 v[6:7], 3, v[16:17]
	v_add_co_u32 v12, vcc_lo, v18, v12
	v_add_co_ci_u32_e64 v13, null, v19, v13, vcc_lo
	v_add_co_u32 v6, vcc_lo, v12, v6
	v_add_co_ci_u32_e64 v7, null, v13, v7, vcc_lo
	global_load_dwordx2 v[6:7], v[6:7], off
	s_waitcnt vmcnt(0)
	v_cmpx_ne_u64_e64 s[42:43], v[6:7]
	s_cbranch_execz .LBB16_26
; %bb.20:                               ;   in Loop: Header=BB16_3 Depth=1
	v_cmp_lt_i64_e32 vcc_lo, -1, v[6:7]
	v_cmp_gt_i64_e64 s0, s[44:45], v[6:7]
	s_mov_b32 s47, 0
	s_and_b32 s48, vcc_lo, s0
	s_and_saveexec_b32 s0, s48
	s_cbranch_execz .LBB16_25
; %bb.21:                               ;   in Loop: Header=BB16_3 Depth=1
	s_andn2_b32 vcc_lo, exec_lo, s51
	s_cbranch_vccnz .LBB16_23
; %bb.22:                               ;   in Loop: Header=BB16_3 Depth=1
	v_lshlrev_b64 v[12:13], 3, v[6:7]
	v_add_co_u32 v12, vcc_lo, s40, v12
	v_add_co_ci_u32_e64 v13, null, s41, v13, vcc_lo
	global_load_dwordx2 v[12:13], v[12:13], off
	s_branch .LBB16_24
.LBB16_23:                              ;   in Loop: Header=BB16_3 Depth=1
	v_mov_b32_e32 v12, 0
	v_mov_b32_e32 v13, 0x3ff00000
.LBB16_24:                              ;   in Loop: Header=BB16_3 Depth=1
	v_mul_lo_u32 v18, s17, v3
	v_mul_lo_u32 v19, s16, v15
	v_mad_u64_u32 v[16:17], null, s16, v3, 0
	v_mul_lo_u32 v22, s19, v8
	v_mul_lo_u32 v23, s18, v9
	;; [unrolled: 1-line block ×4, first 2 shown]
	v_mad_u64_u32 v[20:21], null, s20, v10, 0
	v_add3_u32 v17, v17, v19, v18
	v_mad_u64_u32 v[18:19], null, s18, v8, 0
	v_mul_lo_u32 v15, s24, v15
	s_mov_b32 s47, exec_lo
	v_lshlrev_b64 v[16:17], 3, v[16:17]
	v_add3_u32 v21, v21, v25, v24
	v_add3_u32 v19, v19, v23, v22
	v_add_co_u32 v22, vcc_lo, s14, v16
	v_add_co_ci_u32_e64 v23, null, s15, v17, vcc_lo
	v_lshlrev_b64 v[18:19], 3, v[18:19]
	v_lshlrev_b64 v[16:17], 3, v[20:21]
	v_mul_lo_u32 v20, s25, v3
	v_mul_lo_u32 v21, s26, v7
	v_add_co_u32 v18, vcc_lo, v22, v18
	v_add_co_ci_u32_e64 v19, null, v23, v19, vcc_lo
	v_mul_lo_u32 v22, s29, v8
	v_add_co_u32 v16, vcc_lo, v18, v16
	v_add_co_ci_u32_e64 v17, null, v19, v17, vcc_lo
	v_mad_u64_u32 v[18:19], null, s24, v3, 0
	v_mul_lo_u32 v3, s27, v6
	global_load_dwordx2 v[16:17], v[16:17], off
	v_mad_u64_u32 v[6:7], null, s26, v6, 0
	v_mul_lo_u32 v23, s28, v9
	v_mad_u64_u32 v[8:9], null, s28, v8, 0
	v_add3_u32 v19, v19, v15, v20
	v_mul_lo_u32 v15, s31, v10
	v_mul_lo_u32 v20, s30, v11
	v_add3_u32 v7, v7, v21, v3
	v_mad_u64_u32 v[10:11], null, s30, v10, 0
	v_lshlrev_b64 v[18:19], 3, v[18:19]
	v_add3_u32 v9, v9, v23, v22
	v_lshlrev_b64 v[6:7], 3, v[6:7]
	v_add_co_u32 v3, vcc_lo, s22, v18
	v_lshlrev_b64 v[8:9], 3, v[8:9]
	v_add3_u32 v11, v11, v20, v15
	s_waitcnt vmcnt(0)
	v_mul_f64 v[12:13], v[16:17], -v[12:13]
	v_add_co_ci_u32_e64 v16, null, s23, v19, vcc_lo
	v_add_co_u32 v3, vcc_lo, v3, v6
	v_add_co_ci_u32_e64 v15, null, v16, v7, vcc_lo
	v_lshlrev_b64 v[6:7], 3, v[10:11]
	v_add_co_u32 v3, vcc_lo, v3, v8
	v_add_co_ci_u32_e64 v8, null, v15, v9, vcc_lo
	v_add_co_u32 v6, vcc_lo, v3, v6
	v_add_co_ci_u32_e64 v7, null, v8, v7, vcc_lo
	global_store_dwordx2 v[6:7], v[12:13], off
.LBB16_25:                              ;   in Loop: Header=BB16_3 Depth=1
	s_or_b32 exec_lo, exec_lo, s0
	s_orn2_b32 s0, s47, exec_lo
.LBB16_26:                              ;   in Loop: Header=BB16_3 Depth=1
	s_or_b32 exec_lo, exec_lo, s46
	s_or_b32 s55, s55, exec_lo
	s_and_saveexec_b32 s46, s0
	s_cbranch_execz .LBB16_2
; %bb.27:                               ;   in Loop: Header=BB16_3 Depth=1
	v_add_co_u32 v0, vcc_lo, v0, s50
	v_add_co_ci_u32_e64 v1, null, 0, v1, vcc_lo
	v_add_co_u32 v4, s0, v4, 0
	v_add_co_ci_u32_e64 v5, null, s53, v5, s0
	v_cmp_le_i64_e32 vcc_lo, s[2:3], v[0:1]
	s_andn2_b32 s55, s55, exec_lo
	s_orn2_b32 s5, vcc_lo, exec_lo
	s_branch .LBB16_2
.LBB16_28:
	s_or_b32 exec_lo, exec_lo, s52
	s_and_saveexec_b32 s0, s54
	s_xor_b32 s0, exec_lo, s0
	s_cbranch_execnz .LBB16_30
.LBB16_29:
	s_endpgm
.LBB16_30:
	s_trap 2
	; divergent unreachable
	s_endpgm
	.section	.rodata,"a",@progbits
	.p2align	6, 0x0
	.amdhsa_kernel _ZN2at6native12_GLOBAL__N_136nll_loss2d_backward_no_reduce_kernelIdEEvlN5torch10headeronly6detail27GenericPackedTensorAccessorINS5_14TensorAccessorIN3c108ArrayRefIlEElLm2ENS4_16DefaultPtrTraitsElEENS_6detail16IndexBoundsCheckILm3ElEElLm3ESB_lEENS6_INS7_ISA_T_Lm2ESB_lEESF_SH_Lm3ESB_lEENS6_INS7_ISA_SH_Lm3ESB_lEENSE_ILm4ElEESH_Lm4ESB_lEEPKSH_l
		.amdhsa_group_segment_fixed_size 0
		.amdhsa_private_segment_fixed_size 0
		.amdhsa_kernarg_size 464
		.amdhsa_user_sgpr_count 6
		.amdhsa_user_sgpr_private_segment_buffer 1
		.amdhsa_user_sgpr_dispatch_ptr 0
		.amdhsa_user_sgpr_queue_ptr 0
		.amdhsa_user_sgpr_kernarg_segment_ptr 1
		.amdhsa_user_sgpr_dispatch_id 0
		.amdhsa_user_sgpr_flat_scratch_init 0
		.amdhsa_user_sgpr_private_segment_size 0
		.amdhsa_wavefront_size32 1
		.amdhsa_uses_dynamic_stack 0
		.amdhsa_system_sgpr_private_segment_wavefront_offset 0
		.amdhsa_system_sgpr_workgroup_id_x 1
		.amdhsa_system_sgpr_workgroup_id_y 0
		.amdhsa_system_sgpr_workgroup_id_z 0
		.amdhsa_system_sgpr_workgroup_info 0
		.amdhsa_system_vgpr_workitem_id 0
		.amdhsa_next_free_vgpr 26
		.amdhsa_next_free_sgpr 65
		.amdhsa_reserve_vcc 1
		.amdhsa_reserve_flat_scratch 0
		.amdhsa_float_round_mode_32 0
		.amdhsa_float_round_mode_16_64 0
		.amdhsa_float_denorm_mode_32 3
		.amdhsa_float_denorm_mode_16_64 3
		.amdhsa_dx10_clamp 1
		.amdhsa_ieee_mode 1
		.amdhsa_fp16_overflow 0
		.amdhsa_workgroup_processor_mode 1
		.amdhsa_memory_ordered 1
		.amdhsa_forward_progress 1
		.amdhsa_shared_vgpr_count 0
		.amdhsa_exception_fp_ieee_invalid_op 0
		.amdhsa_exception_fp_denorm_src 0
		.amdhsa_exception_fp_ieee_div_zero 0
		.amdhsa_exception_fp_ieee_overflow 0
		.amdhsa_exception_fp_ieee_underflow 0
		.amdhsa_exception_fp_ieee_inexact 0
		.amdhsa_exception_int_div_zero 0
	.end_amdhsa_kernel
	.section	.text._ZN2at6native12_GLOBAL__N_136nll_loss2d_backward_no_reduce_kernelIdEEvlN5torch10headeronly6detail27GenericPackedTensorAccessorINS5_14TensorAccessorIN3c108ArrayRefIlEElLm2ENS4_16DefaultPtrTraitsElEENS_6detail16IndexBoundsCheckILm3ElEElLm3ESB_lEENS6_INS7_ISA_T_Lm2ESB_lEESF_SH_Lm3ESB_lEENS6_INS7_ISA_SH_Lm3ESB_lEENSE_ILm4ElEESH_Lm4ESB_lEEPKSH_l,"axG",@progbits,_ZN2at6native12_GLOBAL__N_136nll_loss2d_backward_no_reduce_kernelIdEEvlN5torch10headeronly6detail27GenericPackedTensorAccessorINS5_14TensorAccessorIN3c108ArrayRefIlEElLm2ENS4_16DefaultPtrTraitsElEENS_6detail16IndexBoundsCheckILm3ElEElLm3ESB_lEENS6_INS7_ISA_T_Lm2ESB_lEESF_SH_Lm3ESB_lEENS6_INS7_ISA_SH_Lm3ESB_lEENSE_ILm4ElEESH_Lm4ESB_lEEPKSH_l,comdat
.Lfunc_end16:
	.size	_ZN2at6native12_GLOBAL__N_136nll_loss2d_backward_no_reduce_kernelIdEEvlN5torch10headeronly6detail27GenericPackedTensorAccessorINS5_14TensorAccessorIN3c108ArrayRefIlEElLm2ENS4_16DefaultPtrTraitsElEENS_6detail16IndexBoundsCheckILm3ElEElLm3ESB_lEENS6_INS7_ISA_T_Lm2ESB_lEESF_SH_Lm3ESB_lEENS6_INS7_ISA_SH_Lm3ESB_lEENSE_ILm4ElEESH_Lm4ESB_lEEPKSH_l, .Lfunc_end16-_ZN2at6native12_GLOBAL__N_136nll_loss2d_backward_no_reduce_kernelIdEEvlN5torch10headeronly6detail27GenericPackedTensorAccessorINS5_14TensorAccessorIN3c108ArrayRefIlEElLm2ENS4_16DefaultPtrTraitsElEENS_6detail16IndexBoundsCheckILm3ElEElLm3ESB_lEENS6_INS7_ISA_T_Lm2ESB_lEESF_SH_Lm3ESB_lEENS6_INS7_ISA_SH_Lm3ESB_lEENSE_ILm4ElEESH_Lm4ESB_lEEPKSH_l
                                        ; -- End function
	.set _ZN2at6native12_GLOBAL__N_136nll_loss2d_backward_no_reduce_kernelIdEEvlN5torch10headeronly6detail27GenericPackedTensorAccessorINS5_14TensorAccessorIN3c108ArrayRefIlEElLm2ENS4_16DefaultPtrTraitsElEENS_6detail16IndexBoundsCheckILm3ElEElLm3ESB_lEENS6_INS7_ISA_T_Lm2ESB_lEESF_SH_Lm3ESB_lEENS6_INS7_ISA_SH_Lm3ESB_lEENSE_ILm4ElEESH_Lm4ESB_lEEPKSH_l.num_vgpr, 26
	.set _ZN2at6native12_GLOBAL__N_136nll_loss2d_backward_no_reduce_kernelIdEEvlN5torch10headeronly6detail27GenericPackedTensorAccessorINS5_14TensorAccessorIN3c108ArrayRefIlEElLm2ENS4_16DefaultPtrTraitsElEENS_6detail16IndexBoundsCheckILm3ElEElLm3ESB_lEENS6_INS7_ISA_T_Lm2ESB_lEESF_SH_Lm3ESB_lEENS6_INS7_ISA_SH_Lm3ESB_lEENSE_ILm4ElEESH_Lm4ESB_lEEPKSH_l.num_agpr, 0
	.set _ZN2at6native12_GLOBAL__N_136nll_loss2d_backward_no_reduce_kernelIdEEvlN5torch10headeronly6detail27GenericPackedTensorAccessorINS5_14TensorAccessorIN3c108ArrayRefIlEElLm2ENS4_16DefaultPtrTraitsElEENS_6detail16IndexBoundsCheckILm3ElEElLm3ESB_lEENS6_INS7_ISA_T_Lm2ESB_lEESF_SH_Lm3ESB_lEENS6_INS7_ISA_SH_Lm3ESB_lEENSE_ILm4ElEESH_Lm4ESB_lEEPKSH_l.numbered_sgpr, 65
	.set _ZN2at6native12_GLOBAL__N_136nll_loss2d_backward_no_reduce_kernelIdEEvlN5torch10headeronly6detail27GenericPackedTensorAccessorINS5_14TensorAccessorIN3c108ArrayRefIlEElLm2ENS4_16DefaultPtrTraitsElEENS_6detail16IndexBoundsCheckILm3ElEElLm3ESB_lEENS6_INS7_ISA_T_Lm2ESB_lEESF_SH_Lm3ESB_lEENS6_INS7_ISA_SH_Lm3ESB_lEENSE_ILm4ElEESH_Lm4ESB_lEEPKSH_l.num_named_barrier, 0
	.set _ZN2at6native12_GLOBAL__N_136nll_loss2d_backward_no_reduce_kernelIdEEvlN5torch10headeronly6detail27GenericPackedTensorAccessorINS5_14TensorAccessorIN3c108ArrayRefIlEElLm2ENS4_16DefaultPtrTraitsElEENS_6detail16IndexBoundsCheckILm3ElEElLm3ESB_lEENS6_INS7_ISA_T_Lm2ESB_lEESF_SH_Lm3ESB_lEENS6_INS7_ISA_SH_Lm3ESB_lEENSE_ILm4ElEESH_Lm4ESB_lEEPKSH_l.private_seg_size, 0
	.set _ZN2at6native12_GLOBAL__N_136nll_loss2d_backward_no_reduce_kernelIdEEvlN5torch10headeronly6detail27GenericPackedTensorAccessorINS5_14TensorAccessorIN3c108ArrayRefIlEElLm2ENS4_16DefaultPtrTraitsElEENS_6detail16IndexBoundsCheckILm3ElEElLm3ESB_lEENS6_INS7_ISA_T_Lm2ESB_lEESF_SH_Lm3ESB_lEENS6_INS7_ISA_SH_Lm3ESB_lEENSE_ILm4ElEESH_Lm4ESB_lEEPKSH_l.uses_vcc, 1
	.set _ZN2at6native12_GLOBAL__N_136nll_loss2d_backward_no_reduce_kernelIdEEvlN5torch10headeronly6detail27GenericPackedTensorAccessorINS5_14TensorAccessorIN3c108ArrayRefIlEElLm2ENS4_16DefaultPtrTraitsElEENS_6detail16IndexBoundsCheckILm3ElEElLm3ESB_lEENS6_INS7_ISA_T_Lm2ESB_lEESF_SH_Lm3ESB_lEENS6_INS7_ISA_SH_Lm3ESB_lEENSE_ILm4ElEESH_Lm4ESB_lEEPKSH_l.uses_flat_scratch, 0
	.set _ZN2at6native12_GLOBAL__N_136nll_loss2d_backward_no_reduce_kernelIdEEvlN5torch10headeronly6detail27GenericPackedTensorAccessorINS5_14TensorAccessorIN3c108ArrayRefIlEElLm2ENS4_16DefaultPtrTraitsElEENS_6detail16IndexBoundsCheckILm3ElEElLm3ESB_lEENS6_INS7_ISA_T_Lm2ESB_lEESF_SH_Lm3ESB_lEENS6_INS7_ISA_SH_Lm3ESB_lEENSE_ILm4ElEESH_Lm4ESB_lEEPKSH_l.has_dyn_sized_stack, 0
	.set _ZN2at6native12_GLOBAL__N_136nll_loss2d_backward_no_reduce_kernelIdEEvlN5torch10headeronly6detail27GenericPackedTensorAccessorINS5_14TensorAccessorIN3c108ArrayRefIlEElLm2ENS4_16DefaultPtrTraitsElEENS_6detail16IndexBoundsCheckILm3ElEElLm3ESB_lEENS6_INS7_ISA_T_Lm2ESB_lEESF_SH_Lm3ESB_lEENS6_INS7_ISA_SH_Lm3ESB_lEENSE_ILm4ElEESH_Lm4ESB_lEEPKSH_l.has_recursion, 0
	.set _ZN2at6native12_GLOBAL__N_136nll_loss2d_backward_no_reduce_kernelIdEEvlN5torch10headeronly6detail27GenericPackedTensorAccessorINS5_14TensorAccessorIN3c108ArrayRefIlEElLm2ENS4_16DefaultPtrTraitsElEENS_6detail16IndexBoundsCheckILm3ElEElLm3ESB_lEENS6_INS7_ISA_T_Lm2ESB_lEESF_SH_Lm3ESB_lEENS6_INS7_ISA_SH_Lm3ESB_lEENSE_ILm4ElEESH_Lm4ESB_lEEPKSH_l.has_indirect_call, 0
	.section	.AMDGPU.csdata,"",@progbits
; Kernel info:
; codeLenInByte = 4132
; TotalNumSgprs: 67
; NumVgprs: 26
; ScratchSize: 0
; MemoryBound: 0
; FloatMode: 240
; IeeeMode: 1
; LDSByteSize: 0 bytes/workgroup (compile time only)
; SGPRBlocks: 0
; VGPRBlocks: 3
; NumSGPRsForWavesPerEU: 67
; NumVGPRsForWavesPerEU: 26
; Occupancy: 16
; WaveLimiterHint : 1
; COMPUTE_PGM_RSRC2:SCRATCH_EN: 0
; COMPUTE_PGM_RSRC2:USER_SGPR: 6
; COMPUTE_PGM_RSRC2:TRAP_HANDLER: 0
; COMPUTE_PGM_RSRC2:TGID_X_EN: 1
; COMPUTE_PGM_RSRC2:TGID_Y_EN: 0
; COMPUTE_PGM_RSRC2:TGID_Z_EN: 0
; COMPUTE_PGM_RSRC2:TIDIG_COMP_CNT: 0
	.section	.text._ZN2at6native12_GLOBAL__N_136nll_loss2d_backward_no_reduce_kernelIfEEvlN5torch10headeronly6detail27GenericPackedTensorAccessorINS5_14TensorAccessorIN3c108ArrayRefIlEElLm2ENS4_16DefaultPtrTraitsElEENS_6detail16IndexBoundsCheckILm3ElEElLm3ESB_lEENS6_INS7_ISA_T_Lm2ESB_lEESF_SH_Lm3ESB_lEENS6_INS7_ISA_SH_Lm3ESB_lEENSE_ILm4ElEESH_Lm4ESB_lEEPKSH_l,"axG",@progbits,_ZN2at6native12_GLOBAL__N_136nll_loss2d_backward_no_reduce_kernelIfEEvlN5torch10headeronly6detail27GenericPackedTensorAccessorINS5_14TensorAccessorIN3c108ArrayRefIlEElLm2ENS4_16DefaultPtrTraitsElEENS_6detail16IndexBoundsCheckILm3ElEElLm3ESB_lEENS6_INS7_ISA_T_Lm2ESB_lEESF_SH_Lm3ESB_lEENS6_INS7_ISA_SH_Lm3ESB_lEENSE_ILm4ElEESH_Lm4ESB_lEEPKSH_l,comdat
	.globl	_ZN2at6native12_GLOBAL__N_136nll_loss2d_backward_no_reduce_kernelIfEEvlN5torch10headeronly6detail27GenericPackedTensorAccessorINS5_14TensorAccessorIN3c108ArrayRefIlEElLm2ENS4_16DefaultPtrTraitsElEENS_6detail16IndexBoundsCheckILm3ElEElLm3ESB_lEENS6_INS7_ISA_T_Lm2ESB_lEESF_SH_Lm3ESB_lEENS6_INS7_ISA_SH_Lm3ESB_lEENSE_ILm4ElEESH_Lm4ESB_lEEPKSH_l ; -- Begin function _ZN2at6native12_GLOBAL__N_136nll_loss2d_backward_no_reduce_kernelIfEEvlN5torch10headeronly6detail27GenericPackedTensorAccessorINS5_14TensorAccessorIN3c108ArrayRefIlEElLm2ENS4_16DefaultPtrTraitsElEENS_6detail16IndexBoundsCheckILm3ElEElLm3ESB_lEENS6_INS7_ISA_T_Lm2ESB_lEESF_SH_Lm3ESB_lEENS6_INS7_ISA_SH_Lm3ESB_lEENSE_ILm4ElEESH_Lm4ESB_lEEPKSH_l
	.p2align	8
	.type	_ZN2at6native12_GLOBAL__N_136nll_loss2d_backward_no_reduce_kernelIfEEvlN5torch10headeronly6detail27GenericPackedTensorAccessorINS5_14TensorAccessorIN3c108ArrayRefIlEElLm2ENS4_16DefaultPtrTraitsElEENS_6detail16IndexBoundsCheckILm3ElEElLm3ESB_lEENS6_INS7_ISA_T_Lm2ESB_lEESF_SH_Lm3ESB_lEENS6_INS7_ISA_SH_Lm3ESB_lEENSE_ILm4ElEESH_Lm4ESB_lEEPKSH_l,@function
_ZN2at6native12_GLOBAL__N_136nll_loss2d_backward_no_reduce_kernelIfEEvlN5torch10headeronly6detail27GenericPackedTensorAccessorINS5_14TensorAccessorIN3c108ArrayRefIlEElLm2ENS4_16DefaultPtrTraitsElEENS_6detail16IndexBoundsCheckILm3ElEElLm3ESB_lEENS6_INS7_ISA_T_Lm2ESB_lEESF_SH_Lm3ESB_lEENS6_INS7_ISA_SH_Lm3ESB_lEENSE_ILm4ElEESH_Lm4ESB_lEEPKSH_l: ; @_ZN2at6native12_GLOBAL__N_136nll_loss2d_backward_no_reduce_kernelIfEEvlN5torch10headeronly6detail27GenericPackedTensorAccessorINS5_14TensorAccessorIN3c108ArrayRefIlEElLm2ENS4_16DefaultPtrTraitsElEENS_6detail16IndexBoundsCheckILm3ElEElLm3ESB_lEENS6_INS7_ISA_T_Lm2ESB_lEESF_SH_Lm3ESB_lEENS6_INS7_ISA_SH_Lm3ESB_lEENSE_ILm4ElEESH_Lm4ESB_lEEPKSH_l
; %bb.0:
	s_clause 0x1
	s_load_dword s7, s[4:5], 0xdc
	s_load_dwordx2 s[2:3], s[4:5], 0x0
	v_mov_b32_e32 v2, 0
	s_add_u32 s0, s4, 0xd0
	s_addc_u32 s1, s5, 0
	v_mov_b32_e32 v1, v2
	s_waitcnt lgkmcnt(0)
	s_and_b32 s46, s7, 0xffff
	v_mad_u64_u32 v[0:1], null, s46, s6, v[0:1]
	s_mov_b32 s6, exec_lo
	v_cmpx_gt_i64_e64 s[2:3], v[0:1]
	s_cbranch_execz .LBB17_29
; %bb.1:
	s_clause 0x1
	s_load_dwordx4 s[36:39], s[4:5], 0x10
	s_load_dwordx4 s[40:43], s[4:5], 0xc0
	s_load_dword s0, s[0:1], 0x0
	s_clause 0x5
	s_load_dwordx2 s[6:7], s[4:5], 0x8
	s_load_dwordx2 s[34:35], s[4:5], 0x20
	s_load_dwordx8 s[8:15], s[4:5], 0x28
	s_load_dwordx2 s[44:45], s[4:5], 0x88
	s_load_dwordx8 s[16:23], s[4:5], 0x60
	s_load_dwordx8 s[24:31], s[4:5], 0xa0
	s_mov_b32 s52, 0
                                        ; implicit-def: $sgpr54
                                        ; implicit-def: $sgpr55
	s_waitcnt lgkmcnt(0)
	v_cvt_f32_u32_e32 v3, s36
	s_mul_i32 s4, s38, s37
	s_mul_hi_u32 s5, s38, s36
	s_mul_i32 s33, s39, s36
	s_add_i32 s4, s5, s4
	v_rcp_iflag_f32_e32 v4, v3
	v_mov_b32_e32 v3, v0
	s_add_i32 s33, s4, s33
	s_cmp_lg_u64 s[40:41], 0
	s_mul_i32 s50, s0, s46
	s_mul_i32 s1, s38, s36
	s_cselect_b32 s51, -1, 0
	s_mov_b32 s53, s50
	s_ashr_i32 s4, s37, 31
	v_mul_f32_e32 v4, 0x4f7ffffe, v4
	v_cvt_u32_f32_e32 v14, v4
	v_mov_b32_e32 v5, v3
	v_mov_b32_e32 v4, v2
	s_branch .LBB17_3
.LBB17_2:                               ;   in Loop: Header=BB17_3 Depth=1
	s_or_b32 exec_lo, exec_lo, s46
	s_and_b32 s0, exec_lo, s5
	s_or_b32 s52, s0, s52
	s_andn2_b32 s0, s54, exec_lo
	s_and_b32 s5, s55, exec_lo
	s_or_b32 s54, s0, s5
	s_andn2_b32 exec_lo, exec_lo, s52
	s_cbranch_execz .LBB17_28
.LBB17_3:                               ; =>This Inner Loop Header: Depth=1
	v_ashrrev_i32_e32 v15, 31, v5
	v_mov_b32_e32 v16, v5
                                        ; implicit-def: $vgpr6_vgpr7
	s_mov_b32 s0, exec_lo
	v_or_b32_e32 v3, s37, v15
	v_ashrrev_i32_e32 v10, 31, v15
	v_cmpx_ne_u64_e32 0, v[2:3]
	s_xor_b32 s48, exec_lo, s0
	s_cbranch_execz .LBB17_5
; %bb.4:                                ;   in Loop: Header=BB17_3 Depth=1
	s_add_u32 s46, s36, s4
	s_mov_b32 s5, s4
	s_addc_u32 s47, s37, s4
	v_add_co_u32 v7, vcc_lo, v16, v10
	s_xor_b64 s[46:47], s[46:47], s[4:5]
	v_add_co_ci_u32_e64 v8, null, v15, v10, vcc_lo
	v_cvt_f32_u32_e32 v3, s46
	v_cvt_f32_u32_e32 v6, s47
	s_sub_u32 s49, 0, s46
	s_subb_u32 s56, 0, s47
	v_xor_b32_e32 v13, v8, v10
	v_fmac_f32_e32 v3, 0x4f800000, v6
	v_rcp_f32_e32 v3, v3
	v_mul_f32_e32 v3, 0x5f7ffffc, v3
	v_mul_f32_e32 v6, 0x2f800000, v3
	v_trunc_f32_e32 v6, v6
	v_fmac_f32_e32 v3, 0xcf800000, v6
	v_cvt_u32_f32_e32 v6, v6
	v_cvt_u32_f32_e32 v3, v3
	v_readfirstlane_b32 s0, v6
	v_readfirstlane_b32 s5, v3
	s_mul_i32 s57, s49, s0
	v_xor_b32_e32 v3, v7, v10
	s_mul_hi_u32 s59, s49, s5
	s_mul_i32 s58, s56, s5
	s_add_i32 s57, s59, s57
	s_mul_i32 s60, s49, s5
	s_add_i32 s57, s57, s58
	s_mul_hi_u32 s59, s5, s60
	s_mul_i32 s62, s5, s57
	s_mul_hi_u32 s61, s0, s60
	s_mul_i32 s58, s0, s60
	s_mul_hi_u32 s60, s5, s57
	s_add_u32 s59, s59, s62
	s_addc_u32 s60, 0, s60
	s_mul_hi_u32 s63, s0, s57
	s_add_u32 s58, s59, s58
	s_mul_i32 s57, s0, s57
	s_addc_u32 s58, s60, s61
	s_addc_u32 s59, s63, 0
	s_add_u32 s57, s58, s57
	s_addc_u32 s58, 0, s59
	s_add_u32 s5, s5, s57
	s_cselect_b32 s57, -1, 0
	s_mul_hi_u32 s59, s49, s5
	s_cmp_lg_u32 s57, 0
	s_mul_i32 s57, s49, s5
	s_addc_u32 s0, s0, s58
	s_mul_i32 s56, s56, s5
	s_mul_i32 s49, s49, s0
	s_mul_hi_u32 s58, s5, s57
	s_add_i32 s49, s59, s49
	s_mul_hi_u32 s59, s0, s57
	s_add_i32 s49, s49, s56
	s_mul_i32 s56, s0, s57
	s_mul_i32 s61, s5, s49
	s_mul_hi_u32 s60, s5, s49
	s_add_u32 s58, s58, s61
	s_addc_u32 s60, 0, s60
	s_mul_hi_u32 s57, s0, s49
	s_add_u32 s56, s58, s56
	s_mul_i32 s49, s0, s49
	s_addc_u32 s56, s60, s59
	s_addc_u32 s57, s57, 0
	s_add_u32 s49, s56, s49
	s_addc_u32 s56, 0, s57
	s_add_u32 s5, s5, s49
	s_cselect_b32 s49, -1, 0
	v_mul_hi_u32 v17, v3, s5
	s_cmp_lg_u32 s49, 0
	v_mad_u64_u32 v[8:9], null, v13, s5, 0
	s_addc_u32 s0, s0, s56
	v_mad_u64_u32 v[6:7], null, v3, s0, 0
	v_mad_u64_u32 v[11:12], null, v13, s0, 0
	v_add_co_u32 v6, vcc_lo, v17, v6
	v_add_co_ci_u32_e64 v7, null, 0, v7, vcc_lo
	v_add_co_u32 v6, vcc_lo, v6, v8
	v_add_co_ci_u32_e32 v6, vcc_lo, v7, v9, vcc_lo
	v_add_co_ci_u32_e32 v7, vcc_lo, 0, v12, vcc_lo
	v_add_co_u32 v8, vcc_lo, v6, v11
	v_add_co_ci_u32_e64 v9, null, 0, v7, vcc_lo
	v_mul_lo_u32 v11, s47, v8
	v_mad_u64_u32 v[6:7], null, s46, v8, 0
	v_mul_lo_u32 v12, s46, v9
	v_sub_co_u32 v3, vcc_lo, v3, v6
	v_add3_u32 v7, v7, v12, v11
	v_sub_nc_u32_e32 v11, v13, v7
	v_sub_co_ci_u32_e64 v7, null, v13, v7, vcc_lo
	v_subrev_co_ci_u32_e64 v6, null, s47, v11, vcc_lo
	v_add_co_u32 v11, s0, v8, 2
	v_add_co_ci_u32_e64 v12, null, 0, v9, s0
	v_sub_co_u32 v17, s0, v3, s46
	v_subrev_co_ci_u32_e64 v6, null, 0, v6, s0
	v_cmp_le_u32_e32 vcc_lo, s46, v17
	v_cndmask_b32_e64 v13, 0, -1, vcc_lo
	v_cmp_le_u32_e32 vcc_lo, s47, v6
	v_cndmask_b32_e64 v17, 0, -1, vcc_lo
	;; [unrolled: 2-line block ×4, first 2 shown]
	v_cmp_eq_u32_e32 vcc_lo, s47, v6
	v_cndmask_b32_e32 v6, v17, v13, vcc_lo
	v_add_co_u32 v13, vcc_lo, v8, 1
	v_add_co_ci_u32_e64 v17, null, 0, v9, vcc_lo
	v_cmp_eq_u32_e32 vcc_lo, s47, v7
	v_xor_b32_e32 v7, s4, v10
	v_cndmask_b32_e32 v3, v18, v3, vcc_lo
	v_cmp_ne_u32_e32 vcc_lo, 0, v6
	v_cmp_ne_u32_e64 s0, 0, v3
	v_cndmask_b32_e32 v3, v13, v11, vcc_lo
	v_cndmask_b32_e32 v6, v17, v12, vcc_lo
	v_cndmask_b32_e64 v3, v8, v3, s0
	v_cndmask_b32_e64 v6, v9, v6, s0
	v_xor_b32_e32 v3, v3, v7
	v_xor_b32_e32 v8, v6, v7
	v_sub_co_u32 v6, vcc_lo, v3, v7
	v_sub_co_ci_u32_e64 v7, null, v8, v7, vcc_lo
.LBB17_5:                               ;   in Loop: Header=BB17_3 Depth=1
	s_andn2_saveexec_b32 s0, s48
	s_cbranch_execz .LBB17_7
; %bb.6:                                ;   in Loop: Header=BB17_3 Depth=1
	s_sub_i32 s5, 0, s36
	v_mul_lo_u32 v3, s5, v14
	v_mul_hi_u32 v3, v14, v3
	v_add_nc_u32_e32 v3, v14, v3
	v_mul_hi_u32 v3, v16, v3
	v_mul_lo_u32 v6, v3, s36
	v_add_nc_u32_e32 v7, 1, v3
	v_sub_nc_u32_e32 v6, v16, v6
	v_subrev_nc_u32_e32 v8, s36, v6
	v_cmp_le_u32_e32 vcc_lo, s36, v6
	v_cndmask_b32_e32 v6, v6, v8, vcc_lo
	v_cndmask_b32_e32 v3, v3, v7, vcc_lo
	v_cmp_le_u32_e32 vcc_lo, s36, v6
	v_add_nc_u32_e32 v7, 1, v3
	v_cndmask_b32_e32 v6, v3, v7, vcc_lo
	v_mov_b32_e32 v7, v2
.LBB17_7:                               ;   in Loop: Header=BB17_3 Depth=1
	s_or_b32 exec_lo, exec_lo, s0
	v_or_b32_e32 v3, s39, v7
                                        ; implicit-def: $vgpr8_vgpr9
	s_mov_b32 s0, exec_lo
	v_cmpx_ne_u64_e32 0, v[2:3]
	s_xor_b32 s5, exec_lo, s0
	s_cbranch_execz .LBB17_9
; %bb.8:                                ;   in Loop: Header=BB17_3 Depth=1
	s_ashr_i32 s46, s39, 31
	v_ashrrev_i32_e32 v13, 31, v7
	s_add_u32 s48, s38, s46
	s_mov_b32 s47, s46
	s_addc_u32 s49, s39, s46
	s_xor_b64 s[46:47], s[48:49], s[46:47]
	v_add_co_u32 v9, vcc_lo, v6, v13
	v_cvt_f32_u32_e32 v3, s46
	v_cvt_f32_u32_e32 v8, s47
	s_sub_u32 s49, 0, s46
	s_subb_u32 s56, 0, s47
	v_add_co_ci_u32_e64 v11, null, v7, v13, vcc_lo
	v_fmac_f32_e32 v3, 0x4f800000, v8
	v_xor_b32_e32 v19, v11, v13
	v_rcp_f32_e32 v3, v3
	v_mul_f32_e32 v3, 0x5f7ffffc, v3
	v_mul_f32_e32 v8, 0x2f800000, v3
	v_trunc_f32_e32 v8, v8
	v_fmac_f32_e32 v3, 0xcf800000, v8
	v_cvt_u32_f32_e32 v8, v8
	v_cvt_u32_f32_e32 v3, v3
	v_readfirstlane_b32 s0, v8
	v_readfirstlane_b32 s48, v3
	s_mul_i32 s57, s49, s0
	v_xor_b32_e32 v3, v9, v13
	s_mul_hi_u32 s59, s49, s48
	s_mul_i32 s58, s56, s48
	s_add_i32 s57, s59, s57
	s_mul_i32 s60, s49, s48
	s_add_i32 s57, s57, s58
	s_mul_hi_u32 s59, s48, s60
	s_mul_i32 s62, s48, s57
	s_mul_hi_u32 s61, s0, s60
	s_mul_i32 s58, s0, s60
	s_mul_hi_u32 s60, s48, s57
	s_add_u32 s59, s59, s62
	s_addc_u32 s60, 0, s60
	s_mul_hi_u32 s63, s0, s57
	s_add_u32 s58, s59, s58
	s_mul_i32 s57, s0, s57
	s_addc_u32 s58, s60, s61
	s_addc_u32 s59, s63, 0
	s_add_u32 s57, s58, s57
	s_addc_u32 s58, 0, s59
	s_add_u32 s48, s48, s57
	s_cselect_b32 s57, -1, 0
	s_mul_hi_u32 s59, s49, s48
	s_cmp_lg_u32 s57, 0
	s_mul_i32 s57, s49, s48
	s_addc_u32 s0, s0, s58
	s_mul_i32 s56, s56, s48
	s_mul_i32 s49, s49, s0
	s_mul_hi_u32 s58, s48, s57
	s_add_i32 s49, s59, s49
	s_mul_hi_u32 s59, s0, s57
	s_add_i32 s49, s49, s56
	s_mul_i32 s56, s0, s57
	s_mul_i32 s61, s48, s49
	s_mul_hi_u32 s60, s48, s49
	s_add_u32 s58, s58, s61
	s_addc_u32 s60, 0, s60
	s_mul_hi_u32 s57, s0, s49
	s_add_u32 s56, s58, s56
	s_mul_i32 s49, s0, s49
	s_addc_u32 s56, s60, s59
	s_addc_u32 s57, s57, 0
	s_add_u32 s49, s56, s49
	s_addc_u32 s56, 0, s57
	s_add_u32 s48, s48, s49
	s_cselect_b32 s49, -1, 0
	v_mul_hi_u32 v20, v3, s48
	s_cmp_lg_u32 s49, 0
	v_mad_u64_u32 v[11:12], null, v19, s48, 0
	s_addc_u32 s0, s0, s56
	v_mad_u64_u32 v[8:9], null, v3, s0, 0
	v_mad_u64_u32 v[17:18], null, v19, s0, 0
	v_add_co_u32 v8, vcc_lo, v20, v8
	v_add_co_ci_u32_e64 v9, null, 0, v9, vcc_lo
	v_add_co_u32 v8, vcc_lo, v8, v11
	v_add_co_ci_u32_e32 v8, vcc_lo, v9, v12, vcc_lo
	v_add_co_ci_u32_e32 v9, vcc_lo, 0, v18, vcc_lo
	v_add_co_u32 v8, vcc_lo, v8, v17
	v_add_co_ci_u32_e64 v11, null, 0, v9, vcc_lo
	v_mul_lo_u32 v12, s47, v8
	v_mad_u64_u32 v[8:9], null, s46, v8, 0
	v_mul_lo_u32 v11, s46, v11
	v_sub_co_u32 v3, vcc_lo, v3, v8
	v_add3_u32 v9, v9, v11, v12
	v_cmp_le_u32_e64 s0, s46, v3
	v_sub_nc_u32_e32 v11, v19, v9
	v_sub_co_ci_u32_e64 v9, null, v19, v9, vcc_lo
	v_cndmask_b32_e64 v17, 0, -1, s0
	v_subrev_co_ci_u32_e64 v8, null, s47, v11, vcc_lo
	v_sub_co_u32 v11, vcc_lo, v3, s46
	v_subrev_co_ci_u32_e64 v12, null, 0, v8, vcc_lo
	v_cmp_le_u32_e64 s0, s46, v11
	v_subrev_co_ci_u32_e64 v8, null, s47, v8, vcc_lo
	v_cmp_le_u32_e32 vcc_lo, s47, v9
	v_cndmask_b32_e64 v18, 0, -1, s0
	v_cmp_le_u32_e64 s0, s47, v12
	v_cndmask_b32_e64 v20, 0, -1, vcc_lo
	v_cmp_eq_u32_e32 vcc_lo, s47, v12
	v_cndmask_b32_e64 v19, 0, -1, s0
	v_cmp_eq_u32_e64 s0, s47, v9
	v_cndmask_b32_e32 v18, v19, v18, vcc_lo
	v_sub_co_u32 v19, vcc_lo, v11, s46
	v_subrev_co_ci_u32_e64 v8, null, 0, v8, vcc_lo
	v_cmp_ne_u32_e32 vcc_lo, 0, v18
	v_cndmask_b32_e64 v17, v20, v17, s0
	v_cndmask_b32_e32 v8, v12, v8, vcc_lo
	v_cndmask_b32_e32 v11, v11, v19, vcc_lo
	v_cmp_ne_u32_e32 vcc_lo, 0, v17
	v_cndmask_b32_e32 v3, v3, v11, vcc_lo
	v_cndmask_b32_e32 v8, v9, v8, vcc_lo
	v_xor_b32_e32 v3, v3, v13
	v_xor_b32_e32 v9, v8, v13
	v_sub_co_u32 v8, vcc_lo, v3, v13
	v_sub_co_ci_u32_e64 v9, null, v9, v13, vcc_lo
.LBB17_9:                               ;   in Loop: Header=BB17_3 Depth=1
	s_andn2_saveexec_b32 s0, s5
	s_cbranch_execz .LBB17_11
; %bb.10:                               ;   in Loop: Header=BB17_3 Depth=1
	v_cvt_f32_u32_e32 v3, s38
	s_sub_i32 s5, 0, s38
	v_mov_b32_e32 v9, v2
	v_rcp_iflag_f32_e32 v3, v3
	v_mul_f32_e32 v3, 0x4f7ffffe, v3
	v_cvt_u32_f32_e32 v3, v3
	v_mul_lo_u32 v8, s5, v3
	v_mul_hi_u32 v8, v3, v8
	v_add_nc_u32_e32 v3, v3, v8
	v_mul_hi_u32 v3, v6, v3
	v_mul_lo_u32 v3, v3, s38
	v_sub_nc_u32_e32 v3, v6, v3
	v_subrev_nc_u32_e32 v8, s38, v3
	v_cmp_le_u32_e32 vcc_lo, s38, v3
	v_cndmask_b32_e32 v3, v3, v8, vcc_lo
	v_subrev_nc_u32_e32 v8, s38, v3
	v_cmp_le_u32_e32 vcc_lo, s38, v3
	v_cndmask_b32_e32 v8, v3, v8, vcc_lo
.LBB17_11:                              ;   in Loop: Header=BB17_3 Depth=1
	s_or_b32 exec_lo, exec_lo, s0
	v_or_b32_e32 v3, s33, v15
                                        ; implicit-def: $vgpr12_vgpr13
	s_mov_b32 s0, exec_lo
	v_cmpx_ne_u64_e32 0, v[2:3]
	s_xor_b32 s5, exec_lo, s0
	s_cbranch_execz .LBB17_13
; %bb.12:                               ;   in Loop: Header=BB17_3 Depth=1
	s_ashr_i32 s46, s33, 31
	v_add_co_u32 v12, vcc_lo, v16, v10
	s_add_u32 s48, s1, s46
	s_mov_b32 s47, s46
	s_addc_u32 s49, s33, s46
	v_add_co_ci_u32_e64 v13, null, v15, v10, vcc_lo
	s_xor_b64 s[48:49], s[48:49], s[46:47]
	v_cvt_f32_u32_e32 v3, s48
	v_cvt_f32_u32_e32 v11, s49
	s_sub_u32 s56, 0, s48
	s_subb_u32 s57, 0, s49
	v_xor_b32_e32 v13, v13, v10
	v_fmac_f32_e32 v3, 0x4f800000, v11
	v_rcp_f32_e32 v3, v3
	v_mul_f32_e32 v3, 0x5f7ffffc, v3
	v_mul_f32_e32 v11, 0x2f800000, v3
	v_trunc_f32_e32 v11, v11
	v_fmac_f32_e32 v3, 0xcf800000, v11
	v_cvt_u32_f32_e32 v11, v11
	v_cvt_u32_f32_e32 v3, v3
	v_readfirstlane_b32 s0, v11
	v_readfirstlane_b32 s47, v3
	s_mul_i32 s58, s56, s0
	v_xor_b32_e32 v3, v12, v10
	v_xor_b32_e32 v10, s46, v10
	s_mul_hi_u32 s60, s56, s47
	s_mul_i32 s59, s57, s47
	s_add_i32 s58, s60, s58
	s_mul_i32 s61, s56, s47
	s_add_i32 s58, s58, s59
	s_mul_hi_u32 s60, s47, s61
	s_mul_i32 s63, s47, s58
	s_mul_hi_u32 s62, s0, s61
	s_mul_i32 s59, s0, s61
	s_mul_hi_u32 s61, s47, s58
	s_add_u32 s60, s60, s63
	s_addc_u32 s61, 0, s61
	s_mul_hi_u32 s64, s0, s58
	s_add_u32 s59, s60, s59
	s_mul_i32 s58, s0, s58
	s_addc_u32 s59, s61, s62
	s_addc_u32 s60, s64, 0
	s_add_u32 s58, s59, s58
	s_addc_u32 s59, 0, s60
	s_add_u32 s47, s47, s58
	s_cselect_b32 s58, -1, 0
	s_mul_hi_u32 s60, s56, s47
	s_cmp_lg_u32 s58, 0
	s_mul_i32 s58, s56, s47
	s_addc_u32 s0, s0, s59
	s_mul_i32 s57, s57, s47
	s_mul_i32 s56, s56, s0
	s_mul_hi_u32 s59, s47, s58
	s_add_i32 s56, s60, s56
	s_mul_hi_u32 s60, s0, s58
	s_add_i32 s56, s56, s57
	s_mul_i32 s57, s0, s58
	s_mul_i32 s62, s47, s56
	s_mul_hi_u32 s61, s47, s56
	s_add_u32 s59, s59, s62
	s_addc_u32 s61, 0, s61
	s_mul_hi_u32 s58, s0, s56
	s_add_u32 s57, s59, s57
	s_mul_i32 s56, s0, s56
	s_addc_u32 s57, s61, s60
	s_addc_u32 s58, s58, 0
	s_add_u32 s56, s57, s56
	s_addc_u32 s57, 0, s58
	s_add_u32 s47, s47, s56
	s_cselect_b32 s56, -1, 0
	v_mul_hi_u32 v21, v3, s47
	s_cmp_lg_u32 s56, 0
	v_mad_u64_u32 v[17:18], null, v13, s47, 0
	s_addc_u32 s0, s0, s57
	v_mad_u64_u32 v[11:12], null, v3, s0, 0
	v_mad_u64_u32 v[19:20], null, v13, s0, 0
	v_add_co_u32 v11, vcc_lo, v21, v11
	v_add_co_ci_u32_e64 v12, null, 0, v12, vcc_lo
	v_add_co_u32 v11, vcc_lo, v11, v17
	v_add_co_ci_u32_e32 v11, vcc_lo, v12, v18, vcc_lo
	v_add_co_ci_u32_e32 v12, vcc_lo, 0, v20, vcc_lo
	v_add_co_u32 v17, vcc_lo, v11, v19
	v_add_co_ci_u32_e64 v18, null, 0, v12, vcc_lo
	v_mul_lo_u32 v19, s49, v17
	v_mad_u64_u32 v[11:12], null, s48, v17, 0
	v_mul_lo_u32 v20, s48, v18
	v_sub_co_u32 v3, vcc_lo, v3, v11
	v_add3_u32 v12, v12, v20, v19
	v_sub_nc_u32_e32 v19, v13, v12
	v_sub_co_ci_u32_e64 v12, null, v13, v12, vcc_lo
	v_subrev_co_ci_u32_e64 v11, null, s49, v19, vcc_lo
	v_add_co_u32 v19, s0, v17, 2
	v_add_co_ci_u32_e64 v20, null, 0, v18, s0
	v_sub_co_u32 v21, s0, v3, s48
	v_subrev_co_ci_u32_e64 v11, null, 0, v11, s0
	v_cmp_le_u32_e32 vcc_lo, s48, v21
	v_cndmask_b32_e64 v13, 0, -1, vcc_lo
	v_cmp_le_u32_e32 vcc_lo, s49, v11
	v_cndmask_b32_e64 v21, 0, -1, vcc_lo
	;; [unrolled: 2-line block ×4, first 2 shown]
	v_cmp_eq_u32_e32 vcc_lo, s49, v11
	v_cndmask_b32_e32 v11, v21, v13, vcc_lo
	v_add_co_u32 v13, vcc_lo, v17, 1
	v_add_co_ci_u32_e64 v21, null, 0, v18, vcc_lo
	v_cmp_eq_u32_e32 vcc_lo, s49, v12
	v_cndmask_b32_e32 v3, v22, v3, vcc_lo
	v_cmp_ne_u32_e32 vcc_lo, 0, v11
	v_cmp_ne_u32_e64 s0, 0, v3
	v_cndmask_b32_e32 v3, v13, v19, vcc_lo
	v_cndmask_b32_e32 v11, v21, v20, vcc_lo
	v_cndmask_b32_e64 v3, v17, v3, s0
	v_cndmask_b32_e64 v11, v18, v11, s0
	v_xor_b32_e32 v3, v3, v10
	v_xor_b32_e32 v11, v11, v10
	v_sub_co_u32 v12, vcc_lo, v3, v10
	v_sub_co_ci_u32_e64 v13, null, v11, v10, vcc_lo
.LBB17_13:                              ;   in Loop: Header=BB17_3 Depth=1
	s_andn2_saveexec_b32 s0, s5
	s_cbranch_execz .LBB17_15
; %bb.14:                               ;   in Loop: Header=BB17_3 Depth=1
	v_cvt_f32_u32_e32 v3, s1
	s_sub_i32 s5, 0, s1
	v_mov_b32_e32 v13, v2
	v_rcp_iflag_f32_e32 v3, v3
	v_mul_f32_e32 v3, 0x4f7ffffe, v3
	v_cvt_u32_f32_e32 v3, v3
	v_mul_lo_u32 v10, s5, v3
	v_mul_hi_u32 v10, v3, v10
	v_add_nc_u32_e32 v3, v3, v10
	v_mul_hi_u32 v3, v5, v3
	v_mul_lo_u32 v10, v3, s1
	v_add_nc_u32_e32 v11, 1, v3
	v_sub_nc_u32_e32 v10, v5, v10
	v_subrev_nc_u32_e32 v12, s1, v10
	v_cmp_le_u32_e32 vcc_lo, s1, v10
	v_cndmask_b32_e32 v10, v10, v12, vcc_lo
	v_cndmask_b32_e32 v3, v3, v11, vcc_lo
	v_cmp_le_u32_e32 vcc_lo, s1, v10
	v_add_nc_u32_e32 v11, 1, v3
	v_cndmask_b32_e32 v12, v3, v11, vcc_lo
.LBB17_15:                              ;   in Loop: Header=BB17_3 Depth=1
	s_or_b32 exec_lo, exec_lo, s0
	v_or_b32_e32 v3, s35, v13
                                        ; implicit-def: $vgpr10_vgpr11
	s_mov_b32 s0, exec_lo
	v_cmpx_ne_u64_e32 0, v[2:3]
	s_xor_b32 s5, exec_lo, s0
	s_cbranch_execz .LBB17_17
; %bb.16:                               ;   in Loop: Header=BB17_3 Depth=1
	s_ashr_i32 s46, s35, 31
	v_ashrrev_i32_e32 v19, 31, v13
	s_add_u32 s48, s34, s46
	s_mov_b32 s47, s46
	s_addc_u32 s49, s35, s46
	s_xor_b64 s[46:47], s[48:49], s[46:47]
	v_add_co_u32 v11, vcc_lo, v12, v19
	v_cvt_f32_u32_e32 v3, s46
	v_cvt_f32_u32_e32 v10, s47
	s_sub_u32 s49, 0, s46
	s_subb_u32 s56, 0, s47
	v_add_co_ci_u32_e64 v12, null, v13, v19, vcc_lo
	v_fmac_f32_e32 v3, 0x4f800000, v10
	v_xor_b32_e32 v20, v12, v19
	v_rcp_f32_e32 v3, v3
	v_mul_f32_e32 v3, 0x5f7ffffc, v3
	v_mul_f32_e32 v10, 0x2f800000, v3
	v_trunc_f32_e32 v10, v10
	v_fmac_f32_e32 v3, 0xcf800000, v10
	v_cvt_u32_f32_e32 v10, v10
	v_cvt_u32_f32_e32 v3, v3
	v_readfirstlane_b32 s0, v10
	v_readfirstlane_b32 s48, v3
	s_mul_i32 s57, s49, s0
	v_xor_b32_e32 v3, v11, v19
	s_mul_hi_u32 s59, s49, s48
	s_mul_i32 s58, s56, s48
	s_add_i32 s57, s59, s57
	s_mul_i32 s60, s49, s48
	s_add_i32 s57, s57, s58
	s_mul_hi_u32 s59, s48, s60
	s_mul_i32 s62, s48, s57
	s_mul_hi_u32 s61, s0, s60
	s_mul_i32 s58, s0, s60
	s_mul_hi_u32 s60, s48, s57
	s_add_u32 s59, s59, s62
	s_addc_u32 s60, 0, s60
	s_mul_hi_u32 s63, s0, s57
	s_add_u32 s58, s59, s58
	s_mul_i32 s57, s0, s57
	s_addc_u32 s58, s60, s61
	s_addc_u32 s59, s63, 0
	s_add_u32 s57, s58, s57
	s_addc_u32 s58, 0, s59
	s_add_u32 s48, s48, s57
	s_cselect_b32 s57, -1, 0
	s_mul_hi_u32 s59, s49, s48
	s_cmp_lg_u32 s57, 0
	s_mul_i32 s57, s49, s48
	s_addc_u32 s0, s0, s58
	s_mul_i32 s56, s56, s48
	s_mul_i32 s49, s49, s0
	s_mul_hi_u32 s58, s48, s57
	s_add_i32 s49, s59, s49
	s_mul_hi_u32 s59, s0, s57
	s_add_i32 s49, s49, s56
	s_mul_i32 s56, s0, s57
	s_mul_i32 s61, s48, s49
	s_mul_hi_u32 s60, s48, s49
	s_add_u32 s58, s58, s61
	s_addc_u32 s60, 0, s60
	s_mul_hi_u32 s57, s0, s49
	s_add_u32 s56, s58, s56
	s_mul_i32 s49, s0, s49
	s_addc_u32 s56, s60, s59
	s_addc_u32 s57, s57, 0
	s_add_u32 s49, s56, s49
	s_addc_u32 s56, 0, s57
	s_add_u32 s48, s48, s49
	s_cselect_b32 s49, -1, 0
	v_mul_hi_u32 v21, v3, s48
	s_cmp_lg_u32 s49, 0
	v_mad_u64_u32 v[12:13], null, v20, s48, 0
	s_addc_u32 s0, s0, s56
	v_mad_u64_u32 v[10:11], null, v3, s0, 0
	v_mad_u64_u32 v[17:18], null, v20, s0, 0
	v_add_co_u32 v10, vcc_lo, v21, v10
	v_add_co_ci_u32_e64 v11, null, 0, v11, vcc_lo
	v_add_co_u32 v10, vcc_lo, v10, v12
	v_add_co_ci_u32_e32 v10, vcc_lo, v11, v13, vcc_lo
	v_add_co_ci_u32_e32 v11, vcc_lo, 0, v18, vcc_lo
	v_add_co_u32 v10, vcc_lo, v10, v17
	v_add_co_ci_u32_e64 v12, null, 0, v11, vcc_lo
	v_mul_lo_u32 v13, s47, v10
	v_mad_u64_u32 v[10:11], null, s46, v10, 0
	v_mul_lo_u32 v12, s46, v12
	v_sub_co_u32 v3, vcc_lo, v3, v10
	v_add3_u32 v11, v11, v12, v13
	v_cmp_le_u32_e64 s0, s46, v3
	v_sub_nc_u32_e32 v12, v20, v11
	v_sub_co_ci_u32_e64 v11, null, v20, v11, vcc_lo
	v_cndmask_b32_e64 v17, 0, -1, s0
	v_subrev_co_ci_u32_e64 v10, null, s47, v12, vcc_lo
	v_sub_co_u32 v12, vcc_lo, v3, s46
	v_subrev_co_ci_u32_e64 v13, null, 0, v10, vcc_lo
	v_cmp_le_u32_e64 s0, s46, v12
	v_subrev_co_ci_u32_e64 v10, null, s47, v10, vcc_lo
	v_cmp_le_u32_e32 vcc_lo, s47, v11
	v_cndmask_b32_e64 v18, 0, -1, s0
	v_cmp_le_u32_e64 s0, s47, v13
	v_cndmask_b32_e64 v21, 0, -1, vcc_lo
	v_cmp_eq_u32_e32 vcc_lo, s47, v13
	v_cndmask_b32_e64 v20, 0, -1, s0
	v_cmp_eq_u32_e64 s0, s47, v11
	v_cndmask_b32_e32 v18, v20, v18, vcc_lo
	v_sub_co_u32 v20, vcc_lo, v12, s46
	v_subrev_co_ci_u32_e64 v10, null, 0, v10, vcc_lo
	v_cmp_ne_u32_e32 vcc_lo, 0, v18
	v_cndmask_b32_e64 v17, v21, v17, s0
	v_cndmask_b32_e32 v10, v13, v10, vcc_lo
	v_cndmask_b32_e32 v12, v12, v20, vcc_lo
	v_cmp_ne_u32_e32 vcc_lo, 0, v17
	v_cndmask_b32_e32 v3, v3, v12, vcc_lo
	v_cndmask_b32_e32 v10, v11, v10, vcc_lo
                                        ; implicit-def: $vgpr12_vgpr13
	v_xor_b32_e32 v3, v3, v19
	v_xor_b32_e32 v11, v10, v19
	v_sub_co_u32 v10, vcc_lo, v3, v19
	v_sub_co_ci_u32_e64 v11, null, v11, v19, vcc_lo
.LBB17_17:                              ;   in Loop: Header=BB17_3 Depth=1
	s_andn2_saveexec_b32 s0, s5
	s_cbranch_execz .LBB17_19
; %bb.18:                               ;   in Loop: Header=BB17_3 Depth=1
	v_cvt_f32_u32_e32 v3, s34
	s_sub_i32 s5, 0, s34
	v_mov_b32_e32 v11, v2
	v_rcp_iflag_f32_e32 v3, v3
	v_mul_f32_e32 v3, 0x4f7ffffe, v3
	v_cvt_u32_f32_e32 v3, v3
	v_mul_lo_u32 v10, s5, v3
	v_mul_hi_u32 v10, v3, v10
	v_add_nc_u32_e32 v3, v3, v10
	v_mul_hi_u32 v3, v12, v3
	v_mul_lo_u32 v3, v3, s34
	v_sub_nc_u32_e32 v3, v12, v3
	v_subrev_nc_u32_e32 v10, s34, v3
	v_cmp_le_u32_e32 vcc_lo, s34, v3
	v_cndmask_b32_e32 v3, v3, v10, vcc_lo
	v_subrev_nc_u32_e32 v10, s34, v3
	v_cmp_le_u32_e32 vcc_lo, s34, v3
	v_cndmask_b32_e32 v10, v3, v10, vcc_lo
.LBB17_19:                              ;   in Loop: Header=BB17_3 Depth=1
	s_or_b32 exec_lo, exec_lo, s0
	v_mul_lo_u32 v3, v7, s36
	v_mul_lo_u32 v12, v6, s37
	v_mad_u64_u32 v[6:7], null, v6, s36, 0
	v_mul_lo_u32 v19, s11, v8
	v_mul_lo_u32 v20, s10, v9
	v_mul_lo_u32 v21, s13, v10
	v_mul_lo_u32 v22, s12, v11
	s_mov_b32 s5, -1
	s_mov_b32 s0, -1
	v_add3_u32 v7, v7, v12, v3
	v_sub_co_u32 v3, vcc_lo, v16, v6
	s_mov_b32 s46, exec_lo
	v_sub_co_ci_u32_e64 v12, null, v15, v7, vcc_lo
	v_mul_lo_u32 v13, s9, v3
	v_mad_u64_u32 v[6:7], null, s8, v3, 0
	v_mul_lo_u32 v17, s8, v12
	v_mad_u64_u32 v[15:16], null, s10, v8, 0
	v_add3_u32 v7, v7, v17, v13
	v_mad_u64_u32 v[17:18], null, s12, v10, 0
	v_add3_u32 v16, v16, v20, v19
	v_lshlrev_b64 v[6:7], 3, v[6:7]
	v_lshlrev_b64 v[15:16], 3, v[15:16]
	v_add3_u32 v18, v18, v22, v21
	v_add_co_u32 v13, vcc_lo, s6, v6
	v_add_co_ci_u32_e64 v19, null, s7, v7, vcc_lo
	v_lshlrev_b64 v[6:7], 3, v[17:18]
	v_add_co_u32 v13, vcc_lo, v13, v15
	v_add_co_ci_u32_e64 v15, null, v19, v16, vcc_lo
	v_add_co_u32 v6, vcc_lo, v13, v6
	v_add_co_ci_u32_e64 v7, null, v15, v7, vcc_lo
	global_load_dwordx2 v[6:7], v[6:7], off
	s_waitcnt vmcnt(0)
	v_cmpx_ne_u64_e64 s[42:43], v[6:7]
	s_cbranch_execz .LBB17_26
; %bb.20:                               ;   in Loop: Header=BB17_3 Depth=1
	v_cmp_lt_i64_e32 vcc_lo, -1, v[6:7]
	v_cmp_gt_i64_e64 s0, s[44:45], v[6:7]
	s_mov_b32 s47, 0
	s_and_b32 s48, vcc_lo, s0
	s_and_saveexec_b32 s0, s48
	s_cbranch_execz .LBB17_25
; %bb.21:                               ;   in Loop: Header=BB17_3 Depth=1
	s_andn2_b32 vcc_lo, exec_lo, s51
	s_cbranch_vccnz .LBB17_23
; %bb.22:                               ;   in Loop: Header=BB17_3 Depth=1
	v_lshlrev_b64 v[15:16], 2, v[6:7]
	v_add_co_u32 v15, vcc_lo, s40, v15
	v_add_co_ci_u32_e64 v16, null, s41, v16, vcc_lo
	global_load_dword v13, v[15:16], off
	s_branch .LBB17_24
.LBB17_23:                              ;   in Loop: Header=BB17_3 Depth=1
	v_mov_b32_e32 v13, 1.0
.LBB17_24:                              ;   in Loop: Header=BB17_3 Depth=1
	v_mul_lo_u32 v17, s17, v3
	v_mul_lo_u32 v18, s16, v12
	v_mad_u64_u32 v[15:16], null, s16, v3, 0
	v_mul_lo_u32 v21, s19, v8
	v_mul_lo_u32 v22, s18, v9
	;; [unrolled: 1-line block ×4, first 2 shown]
	v_mad_u64_u32 v[19:20], null, s20, v10, 0
	v_add3_u32 v16, v16, v18, v17
	v_mad_u64_u32 v[17:18], null, s18, v8, 0
	v_mul_lo_u32 v12, s24, v12
	s_mov_b32 s47, exec_lo
	v_lshlrev_b64 v[15:16], 2, v[15:16]
	v_add3_u32 v20, v20, v24, v23
	v_mul_lo_u32 v23, s30, v11
	v_add3_u32 v18, v18, v22, v21
	v_add_co_u32 v21, vcc_lo, s14, v15
	v_add_co_ci_u32_e64 v22, null, s15, v16, vcc_lo
	v_lshlrev_b64 v[17:18], 2, v[17:18]
	v_lshlrev_b64 v[15:16], 2, v[19:20]
	v_mul_lo_u32 v19, s26, v7
	v_mul_lo_u32 v20, s29, v8
	v_add_co_u32 v17, vcc_lo, v21, v17
	v_add_co_ci_u32_e64 v18, null, v22, v18, vcc_lo
	v_mul_lo_u32 v21, s28, v9
	v_add_co_u32 v15, vcc_lo, v17, v15
	v_add_co_ci_u32_e64 v16, null, v18, v16, vcc_lo
	v_mul_lo_u32 v18, s25, v3
	v_mad_u64_u32 v[8:9], null, s28, v8, 0
	global_load_dword v17, v[15:16], off
	v_mad_u64_u32 v[15:16], null, s24, v3, 0
	v_mul_lo_u32 v3, s27, v6
	v_mad_u64_u32 v[6:7], null, s26, v6, 0
	v_mul_lo_u32 v22, s31, v10
	v_mad_u64_u32 v[10:11], null, s30, v10, 0
	v_add3_u32 v16, v16, v12, v18
	v_add3_u32 v9, v9, v21, v20
	;; [unrolled: 1-line block ×3, first 2 shown]
	v_lshlrev_b64 v[15:16], 2, v[15:16]
	v_add3_u32 v11, v11, v23, v22
	v_lshlrev_b64 v[8:9], 2, v[8:9]
	v_lshlrev_b64 v[6:7], 2, v[6:7]
	v_add_co_u32 v3, vcc_lo, s22, v15
	v_add_co_ci_u32_e64 v12, null, s23, v16, vcc_lo
	v_add_co_u32 v3, vcc_lo, v3, v6
	v_add_co_ci_u32_e64 v12, null, v12, v7, vcc_lo
	v_lshlrev_b64 v[6:7], 2, v[10:11]
	v_add_co_u32 v3, vcc_lo, v3, v8
	v_add_co_ci_u32_e64 v8, null, v12, v9, vcc_lo
	v_add_co_u32 v6, vcc_lo, v3, v6
	v_add_co_ci_u32_e64 v7, null, v8, v7, vcc_lo
	s_waitcnt vmcnt(0)
	v_mul_f32_e64 v9, v17, -v13
	global_store_dword v[6:7], v9, off
.LBB17_25:                              ;   in Loop: Header=BB17_3 Depth=1
	s_or_b32 exec_lo, exec_lo, s0
	s_orn2_b32 s0, s47, exec_lo
.LBB17_26:                              ;   in Loop: Header=BB17_3 Depth=1
	s_or_b32 exec_lo, exec_lo, s46
	s_or_b32 s55, s55, exec_lo
	s_and_saveexec_b32 s46, s0
	s_cbranch_execz .LBB17_2
; %bb.27:                               ;   in Loop: Header=BB17_3 Depth=1
	v_add_co_u32 v0, vcc_lo, v0, s50
	v_add_co_ci_u32_e64 v1, null, 0, v1, vcc_lo
	v_add_co_u32 v4, s0, v4, 0
	v_add_co_ci_u32_e64 v5, null, s53, v5, s0
	v_cmp_le_i64_e32 vcc_lo, s[2:3], v[0:1]
	s_andn2_b32 s55, s55, exec_lo
	s_orn2_b32 s5, vcc_lo, exec_lo
	s_branch .LBB17_2
.LBB17_28:
	s_or_b32 exec_lo, exec_lo, s52
	s_and_saveexec_b32 s0, s54
	s_xor_b32 s0, exec_lo, s0
	s_cbranch_execnz .LBB17_30
.LBB17_29:
	s_endpgm
.LBB17_30:
	s_trap 2
	; divergent unreachable
	s_endpgm
	.section	.rodata,"a",@progbits
	.p2align	6, 0x0
	.amdhsa_kernel _ZN2at6native12_GLOBAL__N_136nll_loss2d_backward_no_reduce_kernelIfEEvlN5torch10headeronly6detail27GenericPackedTensorAccessorINS5_14TensorAccessorIN3c108ArrayRefIlEElLm2ENS4_16DefaultPtrTraitsElEENS_6detail16IndexBoundsCheckILm3ElEElLm3ESB_lEENS6_INS7_ISA_T_Lm2ESB_lEESF_SH_Lm3ESB_lEENS6_INS7_ISA_SH_Lm3ESB_lEENSE_ILm4ElEESH_Lm4ESB_lEEPKSH_l
		.amdhsa_group_segment_fixed_size 0
		.amdhsa_private_segment_fixed_size 0
		.amdhsa_kernarg_size 464
		.amdhsa_user_sgpr_count 6
		.amdhsa_user_sgpr_private_segment_buffer 1
		.amdhsa_user_sgpr_dispatch_ptr 0
		.amdhsa_user_sgpr_queue_ptr 0
		.amdhsa_user_sgpr_kernarg_segment_ptr 1
		.amdhsa_user_sgpr_dispatch_id 0
		.amdhsa_user_sgpr_flat_scratch_init 0
		.amdhsa_user_sgpr_private_segment_size 0
		.amdhsa_wavefront_size32 1
		.amdhsa_uses_dynamic_stack 0
		.amdhsa_system_sgpr_private_segment_wavefront_offset 0
		.amdhsa_system_sgpr_workgroup_id_x 1
		.amdhsa_system_sgpr_workgroup_id_y 0
		.amdhsa_system_sgpr_workgroup_id_z 0
		.amdhsa_system_sgpr_workgroup_info 0
		.amdhsa_system_vgpr_workitem_id 0
		.amdhsa_next_free_vgpr 25
		.amdhsa_next_free_sgpr 65
		.amdhsa_reserve_vcc 1
		.amdhsa_reserve_flat_scratch 0
		.amdhsa_float_round_mode_32 0
		.amdhsa_float_round_mode_16_64 0
		.amdhsa_float_denorm_mode_32 3
		.amdhsa_float_denorm_mode_16_64 3
		.amdhsa_dx10_clamp 1
		.amdhsa_ieee_mode 1
		.amdhsa_fp16_overflow 0
		.amdhsa_workgroup_processor_mode 1
		.amdhsa_memory_ordered 1
		.amdhsa_forward_progress 1
		.amdhsa_shared_vgpr_count 0
		.amdhsa_exception_fp_ieee_invalid_op 0
		.amdhsa_exception_fp_denorm_src 0
		.amdhsa_exception_fp_ieee_div_zero 0
		.amdhsa_exception_fp_ieee_overflow 0
		.amdhsa_exception_fp_ieee_underflow 0
		.amdhsa_exception_fp_ieee_inexact 0
		.amdhsa_exception_int_div_zero 0
	.end_amdhsa_kernel
	.section	.text._ZN2at6native12_GLOBAL__N_136nll_loss2d_backward_no_reduce_kernelIfEEvlN5torch10headeronly6detail27GenericPackedTensorAccessorINS5_14TensorAccessorIN3c108ArrayRefIlEElLm2ENS4_16DefaultPtrTraitsElEENS_6detail16IndexBoundsCheckILm3ElEElLm3ESB_lEENS6_INS7_ISA_T_Lm2ESB_lEESF_SH_Lm3ESB_lEENS6_INS7_ISA_SH_Lm3ESB_lEENSE_ILm4ElEESH_Lm4ESB_lEEPKSH_l,"axG",@progbits,_ZN2at6native12_GLOBAL__N_136nll_loss2d_backward_no_reduce_kernelIfEEvlN5torch10headeronly6detail27GenericPackedTensorAccessorINS5_14TensorAccessorIN3c108ArrayRefIlEElLm2ENS4_16DefaultPtrTraitsElEENS_6detail16IndexBoundsCheckILm3ElEElLm3ESB_lEENS6_INS7_ISA_T_Lm2ESB_lEESF_SH_Lm3ESB_lEENS6_INS7_ISA_SH_Lm3ESB_lEENSE_ILm4ElEESH_Lm4ESB_lEEPKSH_l,comdat
.Lfunc_end17:
	.size	_ZN2at6native12_GLOBAL__N_136nll_loss2d_backward_no_reduce_kernelIfEEvlN5torch10headeronly6detail27GenericPackedTensorAccessorINS5_14TensorAccessorIN3c108ArrayRefIlEElLm2ENS4_16DefaultPtrTraitsElEENS_6detail16IndexBoundsCheckILm3ElEElLm3ESB_lEENS6_INS7_ISA_T_Lm2ESB_lEESF_SH_Lm3ESB_lEENS6_INS7_ISA_SH_Lm3ESB_lEENSE_ILm4ElEESH_Lm4ESB_lEEPKSH_l, .Lfunc_end17-_ZN2at6native12_GLOBAL__N_136nll_loss2d_backward_no_reduce_kernelIfEEvlN5torch10headeronly6detail27GenericPackedTensorAccessorINS5_14TensorAccessorIN3c108ArrayRefIlEElLm2ENS4_16DefaultPtrTraitsElEENS_6detail16IndexBoundsCheckILm3ElEElLm3ESB_lEENS6_INS7_ISA_T_Lm2ESB_lEESF_SH_Lm3ESB_lEENS6_INS7_ISA_SH_Lm3ESB_lEENSE_ILm4ElEESH_Lm4ESB_lEEPKSH_l
                                        ; -- End function
	.set _ZN2at6native12_GLOBAL__N_136nll_loss2d_backward_no_reduce_kernelIfEEvlN5torch10headeronly6detail27GenericPackedTensorAccessorINS5_14TensorAccessorIN3c108ArrayRefIlEElLm2ENS4_16DefaultPtrTraitsElEENS_6detail16IndexBoundsCheckILm3ElEElLm3ESB_lEENS6_INS7_ISA_T_Lm2ESB_lEESF_SH_Lm3ESB_lEENS6_INS7_ISA_SH_Lm3ESB_lEENSE_ILm4ElEESH_Lm4ESB_lEEPKSH_l.num_vgpr, 25
	.set _ZN2at6native12_GLOBAL__N_136nll_loss2d_backward_no_reduce_kernelIfEEvlN5torch10headeronly6detail27GenericPackedTensorAccessorINS5_14TensorAccessorIN3c108ArrayRefIlEElLm2ENS4_16DefaultPtrTraitsElEENS_6detail16IndexBoundsCheckILm3ElEElLm3ESB_lEENS6_INS7_ISA_T_Lm2ESB_lEESF_SH_Lm3ESB_lEENS6_INS7_ISA_SH_Lm3ESB_lEENSE_ILm4ElEESH_Lm4ESB_lEEPKSH_l.num_agpr, 0
	.set _ZN2at6native12_GLOBAL__N_136nll_loss2d_backward_no_reduce_kernelIfEEvlN5torch10headeronly6detail27GenericPackedTensorAccessorINS5_14TensorAccessorIN3c108ArrayRefIlEElLm2ENS4_16DefaultPtrTraitsElEENS_6detail16IndexBoundsCheckILm3ElEElLm3ESB_lEENS6_INS7_ISA_T_Lm2ESB_lEESF_SH_Lm3ESB_lEENS6_INS7_ISA_SH_Lm3ESB_lEENSE_ILm4ElEESH_Lm4ESB_lEEPKSH_l.numbered_sgpr, 65
	.set _ZN2at6native12_GLOBAL__N_136nll_loss2d_backward_no_reduce_kernelIfEEvlN5torch10headeronly6detail27GenericPackedTensorAccessorINS5_14TensorAccessorIN3c108ArrayRefIlEElLm2ENS4_16DefaultPtrTraitsElEENS_6detail16IndexBoundsCheckILm3ElEElLm3ESB_lEENS6_INS7_ISA_T_Lm2ESB_lEESF_SH_Lm3ESB_lEENS6_INS7_ISA_SH_Lm3ESB_lEENSE_ILm4ElEESH_Lm4ESB_lEEPKSH_l.num_named_barrier, 0
	.set _ZN2at6native12_GLOBAL__N_136nll_loss2d_backward_no_reduce_kernelIfEEvlN5torch10headeronly6detail27GenericPackedTensorAccessorINS5_14TensorAccessorIN3c108ArrayRefIlEElLm2ENS4_16DefaultPtrTraitsElEENS_6detail16IndexBoundsCheckILm3ElEElLm3ESB_lEENS6_INS7_ISA_T_Lm2ESB_lEESF_SH_Lm3ESB_lEENS6_INS7_ISA_SH_Lm3ESB_lEENSE_ILm4ElEESH_Lm4ESB_lEEPKSH_l.private_seg_size, 0
	.set _ZN2at6native12_GLOBAL__N_136nll_loss2d_backward_no_reduce_kernelIfEEvlN5torch10headeronly6detail27GenericPackedTensorAccessorINS5_14TensorAccessorIN3c108ArrayRefIlEElLm2ENS4_16DefaultPtrTraitsElEENS_6detail16IndexBoundsCheckILm3ElEElLm3ESB_lEENS6_INS7_ISA_T_Lm2ESB_lEESF_SH_Lm3ESB_lEENS6_INS7_ISA_SH_Lm3ESB_lEENSE_ILm4ElEESH_Lm4ESB_lEEPKSH_l.uses_vcc, 1
	.set _ZN2at6native12_GLOBAL__N_136nll_loss2d_backward_no_reduce_kernelIfEEvlN5torch10headeronly6detail27GenericPackedTensorAccessorINS5_14TensorAccessorIN3c108ArrayRefIlEElLm2ENS4_16DefaultPtrTraitsElEENS_6detail16IndexBoundsCheckILm3ElEElLm3ESB_lEENS6_INS7_ISA_T_Lm2ESB_lEESF_SH_Lm3ESB_lEENS6_INS7_ISA_SH_Lm3ESB_lEENSE_ILm4ElEESH_Lm4ESB_lEEPKSH_l.uses_flat_scratch, 0
	.set _ZN2at6native12_GLOBAL__N_136nll_loss2d_backward_no_reduce_kernelIfEEvlN5torch10headeronly6detail27GenericPackedTensorAccessorINS5_14TensorAccessorIN3c108ArrayRefIlEElLm2ENS4_16DefaultPtrTraitsElEENS_6detail16IndexBoundsCheckILm3ElEElLm3ESB_lEENS6_INS7_ISA_T_Lm2ESB_lEESF_SH_Lm3ESB_lEENS6_INS7_ISA_SH_Lm3ESB_lEENSE_ILm4ElEESH_Lm4ESB_lEEPKSH_l.has_dyn_sized_stack, 0
	.set _ZN2at6native12_GLOBAL__N_136nll_loss2d_backward_no_reduce_kernelIfEEvlN5torch10headeronly6detail27GenericPackedTensorAccessorINS5_14TensorAccessorIN3c108ArrayRefIlEElLm2ENS4_16DefaultPtrTraitsElEENS_6detail16IndexBoundsCheckILm3ElEElLm3ESB_lEENS6_INS7_ISA_T_Lm2ESB_lEESF_SH_Lm3ESB_lEENS6_INS7_ISA_SH_Lm3ESB_lEENSE_ILm4ElEESH_Lm4ESB_lEEPKSH_l.has_recursion, 0
	.set _ZN2at6native12_GLOBAL__N_136nll_loss2d_backward_no_reduce_kernelIfEEvlN5torch10headeronly6detail27GenericPackedTensorAccessorINS5_14TensorAccessorIN3c108ArrayRefIlEElLm2ENS4_16DefaultPtrTraitsElEENS_6detail16IndexBoundsCheckILm3ElEElLm3ESB_lEENS6_INS7_ISA_T_Lm2ESB_lEESF_SH_Lm3ESB_lEENS6_INS7_ISA_SH_Lm3ESB_lEENSE_ILm4ElEESH_Lm4ESB_lEEPKSH_l.has_indirect_call, 0
	.section	.AMDGPU.csdata,"",@progbits
; Kernel info:
; codeLenInByte = 4124
; TotalNumSgprs: 67
; NumVgprs: 25
; ScratchSize: 0
; MemoryBound: 0
; FloatMode: 240
; IeeeMode: 1
; LDSByteSize: 0 bytes/workgroup (compile time only)
; SGPRBlocks: 0
; VGPRBlocks: 3
; NumSGPRsForWavesPerEU: 67
; NumVGPRsForWavesPerEU: 25
; Occupancy: 16
; WaveLimiterHint : 1
; COMPUTE_PGM_RSRC2:SCRATCH_EN: 0
; COMPUTE_PGM_RSRC2:USER_SGPR: 6
; COMPUTE_PGM_RSRC2:TRAP_HANDLER: 0
; COMPUTE_PGM_RSRC2:TGID_X_EN: 1
; COMPUTE_PGM_RSRC2:TGID_Y_EN: 0
; COMPUTE_PGM_RSRC2:TGID_Z_EN: 0
; COMPUTE_PGM_RSRC2:TIDIG_COMP_CNT: 0
	.section	.text._ZN2at6native12_GLOBAL__N_136nll_loss2d_backward_no_reduce_kernelIN3c104HalfEEEvlN5torch10headeronly6detail27GenericPackedTensorAccessorINS7_14TensorAccessorINS3_8ArrayRefIlEElLm2ENS6_16DefaultPtrTraitsElEENS_6detail16IndexBoundsCheckILm3ElEElLm3ESC_lEENS8_INS9_ISB_T_Lm2ESC_lEESG_SI_Lm3ESC_lEENS8_INS9_ISB_SI_Lm3ESC_lEENSF_ILm4ElEESI_Lm4ESC_lEEPKSI_l,"axG",@progbits,_ZN2at6native12_GLOBAL__N_136nll_loss2d_backward_no_reduce_kernelIN3c104HalfEEEvlN5torch10headeronly6detail27GenericPackedTensorAccessorINS7_14TensorAccessorINS3_8ArrayRefIlEElLm2ENS6_16DefaultPtrTraitsElEENS_6detail16IndexBoundsCheckILm3ElEElLm3ESC_lEENS8_INS9_ISB_T_Lm2ESC_lEESG_SI_Lm3ESC_lEENS8_INS9_ISB_SI_Lm3ESC_lEENSF_ILm4ElEESI_Lm4ESC_lEEPKSI_l,comdat
	.globl	_ZN2at6native12_GLOBAL__N_136nll_loss2d_backward_no_reduce_kernelIN3c104HalfEEEvlN5torch10headeronly6detail27GenericPackedTensorAccessorINS7_14TensorAccessorINS3_8ArrayRefIlEElLm2ENS6_16DefaultPtrTraitsElEENS_6detail16IndexBoundsCheckILm3ElEElLm3ESC_lEENS8_INS9_ISB_T_Lm2ESC_lEESG_SI_Lm3ESC_lEENS8_INS9_ISB_SI_Lm3ESC_lEENSF_ILm4ElEESI_Lm4ESC_lEEPKSI_l ; -- Begin function _ZN2at6native12_GLOBAL__N_136nll_loss2d_backward_no_reduce_kernelIN3c104HalfEEEvlN5torch10headeronly6detail27GenericPackedTensorAccessorINS7_14TensorAccessorINS3_8ArrayRefIlEElLm2ENS6_16DefaultPtrTraitsElEENS_6detail16IndexBoundsCheckILm3ElEElLm3ESC_lEENS8_INS9_ISB_T_Lm2ESC_lEESG_SI_Lm3ESC_lEENS8_INS9_ISB_SI_Lm3ESC_lEENSF_ILm4ElEESI_Lm4ESC_lEEPKSI_l
	.p2align	8
	.type	_ZN2at6native12_GLOBAL__N_136nll_loss2d_backward_no_reduce_kernelIN3c104HalfEEEvlN5torch10headeronly6detail27GenericPackedTensorAccessorINS7_14TensorAccessorINS3_8ArrayRefIlEElLm2ENS6_16DefaultPtrTraitsElEENS_6detail16IndexBoundsCheckILm3ElEElLm3ESC_lEENS8_INS9_ISB_T_Lm2ESC_lEESG_SI_Lm3ESC_lEENS8_INS9_ISB_SI_Lm3ESC_lEENSF_ILm4ElEESI_Lm4ESC_lEEPKSI_l,@function
_ZN2at6native12_GLOBAL__N_136nll_loss2d_backward_no_reduce_kernelIN3c104HalfEEEvlN5torch10headeronly6detail27GenericPackedTensorAccessorINS7_14TensorAccessorINS3_8ArrayRefIlEElLm2ENS6_16DefaultPtrTraitsElEENS_6detail16IndexBoundsCheckILm3ElEElLm3ESC_lEENS8_INS9_ISB_T_Lm2ESC_lEESG_SI_Lm3ESC_lEENS8_INS9_ISB_SI_Lm3ESC_lEENSF_ILm4ElEESI_Lm4ESC_lEEPKSI_l: ; @_ZN2at6native12_GLOBAL__N_136nll_loss2d_backward_no_reduce_kernelIN3c104HalfEEEvlN5torch10headeronly6detail27GenericPackedTensorAccessorINS7_14TensorAccessorINS3_8ArrayRefIlEElLm2ENS6_16DefaultPtrTraitsElEENS_6detail16IndexBoundsCheckILm3ElEElLm3ESC_lEENS8_INS9_ISB_T_Lm2ESC_lEESG_SI_Lm3ESC_lEENS8_INS9_ISB_SI_Lm3ESC_lEENSF_ILm4ElEESI_Lm4ESC_lEEPKSI_l
; %bb.0:
	s_clause 0x1
	s_load_dword s7, s[4:5], 0xdc
	s_load_dwordx2 s[2:3], s[4:5], 0x0
	v_mov_b32_e32 v2, 0
	s_add_u32 s0, s4, 0xd0
	s_addc_u32 s1, s5, 0
	v_mov_b32_e32 v1, v2
	s_waitcnt lgkmcnt(0)
	s_and_b32 s46, s7, 0xffff
	v_mad_u64_u32 v[0:1], null, s46, s6, v[0:1]
	s_mov_b32 s6, exec_lo
	v_cmpx_gt_i64_e64 s[2:3], v[0:1]
	s_cbranch_execz .LBB18_29
; %bb.1:
	s_clause 0x1
	s_load_dwordx4 s[36:39], s[4:5], 0x10
	s_load_dwordx4 s[40:43], s[4:5], 0xc0
	s_load_dword s0, s[0:1], 0x0
	s_clause 0x5
	s_load_dwordx2 s[6:7], s[4:5], 0x8
	s_load_dwordx2 s[34:35], s[4:5], 0x20
	s_load_dwordx8 s[8:15], s[4:5], 0x28
	s_load_dwordx2 s[44:45], s[4:5], 0x88
	s_load_dwordx8 s[16:23], s[4:5], 0x60
	s_load_dwordx8 s[24:31], s[4:5], 0xa0
	s_mov_b32 s52, 0
                                        ; implicit-def: $sgpr54
                                        ; implicit-def: $sgpr55
	s_waitcnt lgkmcnt(0)
	v_cvt_f32_u32_e32 v3, s36
	s_mul_i32 s4, s38, s37
	s_mul_hi_u32 s5, s38, s36
	s_mul_i32 s33, s39, s36
	s_add_i32 s4, s5, s4
	v_rcp_iflag_f32_e32 v4, v3
	v_mov_b32_e32 v3, v0
	s_add_i32 s33, s4, s33
	s_cmp_lg_u64 s[40:41], 0
	s_mul_i32 s50, s0, s46
	s_mul_i32 s1, s38, s36
	s_cselect_b32 s51, -1, 0
	s_mov_b32 s53, s50
	s_ashr_i32 s4, s37, 31
	v_mul_f32_e32 v4, 0x4f7ffffe, v4
	v_cvt_u32_f32_e32 v14, v4
	v_mov_b32_e32 v5, v3
	v_mov_b32_e32 v4, v2
	s_branch .LBB18_3
.LBB18_2:                               ;   in Loop: Header=BB18_3 Depth=1
	s_or_b32 exec_lo, exec_lo, s46
	s_and_b32 s0, exec_lo, s5
	s_or_b32 s52, s0, s52
	s_andn2_b32 s0, s54, exec_lo
	s_and_b32 s5, s55, exec_lo
	s_or_b32 s54, s0, s5
	s_andn2_b32 exec_lo, exec_lo, s52
	s_cbranch_execz .LBB18_28
.LBB18_3:                               ; =>This Inner Loop Header: Depth=1
	v_ashrrev_i32_e32 v15, 31, v5
	v_mov_b32_e32 v16, v5
                                        ; implicit-def: $vgpr6_vgpr7
	s_mov_b32 s0, exec_lo
	v_or_b32_e32 v3, s37, v15
	v_ashrrev_i32_e32 v10, 31, v15
	v_cmpx_ne_u64_e32 0, v[2:3]
	s_xor_b32 s48, exec_lo, s0
	s_cbranch_execz .LBB18_5
; %bb.4:                                ;   in Loop: Header=BB18_3 Depth=1
	s_add_u32 s46, s36, s4
	s_mov_b32 s5, s4
	s_addc_u32 s47, s37, s4
	v_add_co_u32 v7, vcc_lo, v16, v10
	s_xor_b64 s[46:47], s[46:47], s[4:5]
	v_add_co_ci_u32_e64 v8, null, v15, v10, vcc_lo
	v_cvt_f32_u32_e32 v3, s46
	v_cvt_f32_u32_e32 v6, s47
	s_sub_u32 s49, 0, s46
	s_subb_u32 s56, 0, s47
	v_xor_b32_e32 v13, v8, v10
	v_fmac_f32_e32 v3, 0x4f800000, v6
	v_rcp_f32_e32 v3, v3
	v_mul_f32_e32 v3, 0x5f7ffffc, v3
	v_mul_f32_e32 v6, 0x2f800000, v3
	v_trunc_f32_e32 v6, v6
	v_fmac_f32_e32 v3, 0xcf800000, v6
	v_cvt_u32_f32_e32 v6, v6
	v_cvt_u32_f32_e32 v3, v3
	v_readfirstlane_b32 s0, v6
	v_readfirstlane_b32 s5, v3
	s_mul_i32 s57, s49, s0
	v_xor_b32_e32 v3, v7, v10
	s_mul_hi_u32 s59, s49, s5
	s_mul_i32 s58, s56, s5
	s_add_i32 s57, s59, s57
	s_mul_i32 s60, s49, s5
	s_add_i32 s57, s57, s58
	s_mul_hi_u32 s59, s5, s60
	s_mul_i32 s62, s5, s57
	s_mul_hi_u32 s61, s0, s60
	s_mul_i32 s58, s0, s60
	s_mul_hi_u32 s60, s5, s57
	s_add_u32 s59, s59, s62
	s_addc_u32 s60, 0, s60
	s_mul_hi_u32 s63, s0, s57
	s_add_u32 s58, s59, s58
	s_mul_i32 s57, s0, s57
	s_addc_u32 s58, s60, s61
	s_addc_u32 s59, s63, 0
	s_add_u32 s57, s58, s57
	s_addc_u32 s58, 0, s59
	s_add_u32 s5, s5, s57
	s_cselect_b32 s57, -1, 0
	s_mul_hi_u32 s59, s49, s5
	s_cmp_lg_u32 s57, 0
	s_mul_i32 s57, s49, s5
	s_addc_u32 s0, s0, s58
	s_mul_i32 s56, s56, s5
	s_mul_i32 s49, s49, s0
	s_mul_hi_u32 s58, s5, s57
	s_add_i32 s49, s59, s49
	s_mul_hi_u32 s59, s0, s57
	s_add_i32 s49, s49, s56
	s_mul_i32 s56, s0, s57
	s_mul_i32 s61, s5, s49
	s_mul_hi_u32 s60, s5, s49
	s_add_u32 s58, s58, s61
	s_addc_u32 s60, 0, s60
	s_mul_hi_u32 s57, s0, s49
	s_add_u32 s56, s58, s56
	s_mul_i32 s49, s0, s49
	s_addc_u32 s56, s60, s59
	s_addc_u32 s57, s57, 0
	s_add_u32 s49, s56, s49
	s_addc_u32 s56, 0, s57
	s_add_u32 s5, s5, s49
	s_cselect_b32 s49, -1, 0
	v_mul_hi_u32 v17, v3, s5
	s_cmp_lg_u32 s49, 0
	v_mad_u64_u32 v[8:9], null, v13, s5, 0
	s_addc_u32 s0, s0, s56
	v_mad_u64_u32 v[6:7], null, v3, s0, 0
	v_mad_u64_u32 v[11:12], null, v13, s0, 0
	v_add_co_u32 v6, vcc_lo, v17, v6
	v_add_co_ci_u32_e64 v7, null, 0, v7, vcc_lo
	v_add_co_u32 v6, vcc_lo, v6, v8
	v_add_co_ci_u32_e32 v6, vcc_lo, v7, v9, vcc_lo
	v_add_co_ci_u32_e32 v7, vcc_lo, 0, v12, vcc_lo
	v_add_co_u32 v8, vcc_lo, v6, v11
	v_add_co_ci_u32_e64 v9, null, 0, v7, vcc_lo
	v_mul_lo_u32 v11, s47, v8
	v_mad_u64_u32 v[6:7], null, s46, v8, 0
	v_mul_lo_u32 v12, s46, v9
	v_sub_co_u32 v3, vcc_lo, v3, v6
	v_add3_u32 v7, v7, v12, v11
	v_sub_nc_u32_e32 v11, v13, v7
	v_sub_co_ci_u32_e64 v7, null, v13, v7, vcc_lo
	v_subrev_co_ci_u32_e64 v6, null, s47, v11, vcc_lo
	v_add_co_u32 v11, s0, v8, 2
	v_add_co_ci_u32_e64 v12, null, 0, v9, s0
	v_sub_co_u32 v17, s0, v3, s46
	v_subrev_co_ci_u32_e64 v6, null, 0, v6, s0
	v_cmp_le_u32_e32 vcc_lo, s46, v17
	v_cndmask_b32_e64 v13, 0, -1, vcc_lo
	v_cmp_le_u32_e32 vcc_lo, s47, v6
	v_cndmask_b32_e64 v17, 0, -1, vcc_lo
	;; [unrolled: 2-line block ×4, first 2 shown]
	v_cmp_eq_u32_e32 vcc_lo, s47, v6
	v_cndmask_b32_e32 v6, v17, v13, vcc_lo
	v_add_co_u32 v13, vcc_lo, v8, 1
	v_add_co_ci_u32_e64 v17, null, 0, v9, vcc_lo
	v_cmp_eq_u32_e32 vcc_lo, s47, v7
	v_xor_b32_e32 v7, s4, v10
	v_cndmask_b32_e32 v3, v18, v3, vcc_lo
	v_cmp_ne_u32_e32 vcc_lo, 0, v6
	v_cmp_ne_u32_e64 s0, 0, v3
	v_cndmask_b32_e32 v3, v13, v11, vcc_lo
	v_cndmask_b32_e32 v6, v17, v12, vcc_lo
	v_cndmask_b32_e64 v3, v8, v3, s0
	v_cndmask_b32_e64 v6, v9, v6, s0
	v_xor_b32_e32 v3, v3, v7
	v_xor_b32_e32 v8, v6, v7
	v_sub_co_u32 v6, vcc_lo, v3, v7
	v_sub_co_ci_u32_e64 v7, null, v8, v7, vcc_lo
.LBB18_5:                               ;   in Loop: Header=BB18_3 Depth=1
	s_andn2_saveexec_b32 s0, s48
	s_cbranch_execz .LBB18_7
; %bb.6:                                ;   in Loop: Header=BB18_3 Depth=1
	s_sub_i32 s5, 0, s36
	v_mul_lo_u32 v3, s5, v14
	v_mul_hi_u32 v3, v14, v3
	v_add_nc_u32_e32 v3, v14, v3
	v_mul_hi_u32 v3, v16, v3
	v_mul_lo_u32 v6, v3, s36
	v_add_nc_u32_e32 v7, 1, v3
	v_sub_nc_u32_e32 v6, v16, v6
	v_subrev_nc_u32_e32 v8, s36, v6
	v_cmp_le_u32_e32 vcc_lo, s36, v6
	v_cndmask_b32_e32 v6, v6, v8, vcc_lo
	v_cndmask_b32_e32 v3, v3, v7, vcc_lo
	v_cmp_le_u32_e32 vcc_lo, s36, v6
	v_add_nc_u32_e32 v7, 1, v3
	v_cndmask_b32_e32 v6, v3, v7, vcc_lo
	v_mov_b32_e32 v7, v2
.LBB18_7:                               ;   in Loop: Header=BB18_3 Depth=1
	s_or_b32 exec_lo, exec_lo, s0
	v_or_b32_e32 v3, s39, v7
                                        ; implicit-def: $vgpr8_vgpr9
	s_mov_b32 s0, exec_lo
	v_cmpx_ne_u64_e32 0, v[2:3]
	s_xor_b32 s5, exec_lo, s0
	s_cbranch_execz .LBB18_9
; %bb.8:                                ;   in Loop: Header=BB18_3 Depth=1
	s_ashr_i32 s46, s39, 31
	v_ashrrev_i32_e32 v13, 31, v7
	s_add_u32 s48, s38, s46
	s_mov_b32 s47, s46
	s_addc_u32 s49, s39, s46
	s_xor_b64 s[46:47], s[48:49], s[46:47]
	v_add_co_u32 v9, vcc_lo, v6, v13
	v_cvt_f32_u32_e32 v3, s46
	v_cvt_f32_u32_e32 v8, s47
	s_sub_u32 s49, 0, s46
	s_subb_u32 s56, 0, s47
	v_add_co_ci_u32_e64 v11, null, v7, v13, vcc_lo
	v_fmac_f32_e32 v3, 0x4f800000, v8
	v_xor_b32_e32 v19, v11, v13
	v_rcp_f32_e32 v3, v3
	v_mul_f32_e32 v3, 0x5f7ffffc, v3
	v_mul_f32_e32 v8, 0x2f800000, v3
	v_trunc_f32_e32 v8, v8
	v_fmac_f32_e32 v3, 0xcf800000, v8
	v_cvt_u32_f32_e32 v8, v8
	v_cvt_u32_f32_e32 v3, v3
	v_readfirstlane_b32 s0, v8
	v_readfirstlane_b32 s48, v3
	s_mul_i32 s57, s49, s0
	v_xor_b32_e32 v3, v9, v13
	s_mul_hi_u32 s59, s49, s48
	s_mul_i32 s58, s56, s48
	s_add_i32 s57, s59, s57
	s_mul_i32 s60, s49, s48
	s_add_i32 s57, s57, s58
	s_mul_hi_u32 s59, s48, s60
	s_mul_i32 s62, s48, s57
	s_mul_hi_u32 s61, s0, s60
	s_mul_i32 s58, s0, s60
	s_mul_hi_u32 s60, s48, s57
	s_add_u32 s59, s59, s62
	s_addc_u32 s60, 0, s60
	s_mul_hi_u32 s63, s0, s57
	s_add_u32 s58, s59, s58
	s_mul_i32 s57, s0, s57
	s_addc_u32 s58, s60, s61
	s_addc_u32 s59, s63, 0
	s_add_u32 s57, s58, s57
	s_addc_u32 s58, 0, s59
	s_add_u32 s48, s48, s57
	s_cselect_b32 s57, -1, 0
	s_mul_hi_u32 s59, s49, s48
	s_cmp_lg_u32 s57, 0
	s_mul_i32 s57, s49, s48
	s_addc_u32 s0, s0, s58
	s_mul_i32 s56, s56, s48
	s_mul_i32 s49, s49, s0
	s_mul_hi_u32 s58, s48, s57
	s_add_i32 s49, s59, s49
	s_mul_hi_u32 s59, s0, s57
	s_add_i32 s49, s49, s56
	s_mul_i32 s56, s0, s57
	s_mul_i32 s61, s48, s49
	s_mul_hi_u32 s60, s48, s49
	s_add_u32 s58, s58, s61
	s_addc_u32 s60, 0, s60
	s_mul_hi_u32 s57, s0, s49
	s_add_u32 s56, s58, s56
	s_mul_i32 s49, s0, s49
	s_addc_u32 s56, s60, s59
	s_addc_u32 s57, s57, 0
	s_add_u32 s49, s56, s49
	s_addc_u32 s56, 0, s57
	s_add_u32 s48, s48, s49
	s_cselect_b32 s49, -1, 0
	v_mul_hi_u32 v20, v3, s48
	s_cmp_lg_u32 s49, 0
	v_mad_u64_u32 v[11:12], null, v19, s48, 0
	s_addc_u32 s0, s0, s56
	v_mad_u64_u32 v[8:9], null, v3, s0, 0
	v_mad_u64_u32 v[17:18], null, v19, s0, 0
	v_add_co_u32 v8, vcc_lo, v20, v8
	v_add_co_ci_u32_e64 v9, null, 0, v9, vcc_lo
	v_add_co_u32 v8, vcc_lo, v8, v11
	v_add_co_ci_u32_e32 v8, vcc_lo, v9, v12, vcc_lo
	v_add_co_ci_u32_e32 v9, vcc_lo, 0, v18, vcc_lo
	v_add_co_u32 v8, vcc_lo, v8, v17
	v_add_co_ci_u32_e64 v11, null, 0, v9, vcc_lo
	v_mul_lo_u32 v12, s47, v8
	v_mad_u64_u32 v[8:9], null, s46, v8, 0
	v_mul_lo_u32 v11, s46, v11
	v_sub_co_u32 v3, vcc_lo, v3, v8
	v_add3_u32 v9, v9, v11, v12
	v_cmp_le_u32_e64 s0, s46, v3
	v_sub_nc_u32_e32 v11, v19, v9
	v_sub_co_ci_u32_e64 v9, null, v19, v9, vcc_lo
	v_cndmask_b32_e64 v17, 0, -1, s0
	v_subrev_co_ci_u32_e64 v8, null, s47, v11, vcc_lo
	v_sub_co_u32 v11, vcc_lo, v3, s46
	v_subrev_co_ci_u32_e64 v12, null, 0, v8, vcc_lo
	v_cmp_le_u32_e64 s0, s46, v11
	v_subrev_co_ci_u32_e64 v8, null, s47, v8, vcc_lo
	v_cmp_le_u32_e32 vcc_lo, s47, v9
	v_cndmask_b32_e64 v18, 0, -1, s0
	v_cmp_le_u32_e64 s0, s47, v12
	v_cndmask_b32_e64 v20, 0, -1, vcc_lo
	v_cmp_eq_u32_e32 vcc_lo, s47, v12
	v_cndmask_b32_e64 v19, 0, -1, s0
	v_cmp_eq_u32_e64 s0, s47, v9
	v_cndmask_b32_e32 v18, v19, v18, vcc_lo
	v_sub_co_u32 v19, vcc_lo, v11, s46
	v_subrev_co_ci_u32_e64 v8, null, 0, v8, vcc_lo
	v_cmp_ne_u32_e32 vcc_lo, 0, v18
	v_cndmask_b32_e64 v17, v20, v17, s0
	v_cndmask_b32_e32 v8, v12, v8, vcc_lo
	v_cndmask_b32_e32 v11, v11, v19, vcc_lo
	v_cmp_ne_u32_e32 vcc_lo, 0, v17
	v_cndmask_b32_e32 v3, v3, v11, vcc_lo
	v_cndmask_b32_e32 v8, v9, v8, vcc_lo
	v_xor_b32_e32 v3, v3, v13
	v_xor_b32_e32 v9, v8, v13
	v_sub_co_u32 v8, vcc_lo, v3, v13
	v_sub_co_ci_u32_e64 v9, null, v9, v13, vcc_lo
.LBB18_9:                               ;   in Loop: Header=BB18_3 Depth=1
	s_andn2_saveexec_b32 s0, s5
	s_cbranch_execz .LBB18_11
; %bb.10:                               ;   in Loop: Header=BB18_3 Depth=1
	v_cvt_f32_u32_e32 v3, s38
	s_sub_i32 s5, 0, s38
	v_mov_b32_e32 v9, v2
	v_rcp_iflag_f32_e32 v3, v3
	v_mul_f32_e32 v3, 0x4f7ffffe, v3
	v_cvt_u32_f32_e32 v3, v3
	v_mul_lo_u32 v8, s5, v3
	v_mul_hi_u32 v8, v3, v8
	v_add_nc_u32_e32 v3, v3, v8
	v_mul_hi_u32 v3, v6, v3
	v_mul_lo_u32 v3, v3, s38
	v_sub_nc_u32_e32 v3, v6, v3
	v_subrev_nc_u32_e32 v8, s38, v3
	v_cmp_le_u32_e32 vcc_lo, s38, v3
	v_cndmask_b32_e32 v3, v3, v8, vcc_lo
	v_subrev_nc_u32_e32 v8, s38, v3
	v_cmp_le_u32_e32 vcc_lo, s38, v3
	v_cndmask_b32_e32 v8, v3, v8, vcc_lo
.LBB18_11:                              ;   in Loop: Header=BB18_3 Depth=1
	s_or_b32 exec_lo, exec_lo, s0
	v_or_b32_e32 v3, s33, v15
                                        ; implicit-def: $vgpr12_vgpr13
	s_mov_b32 s0, exec_lo
	v_cmpx_ne_u64_e32 0, v[2:3]
	s_xor_b32 s5, exec_lo, s0
	s_cbranch_execz .LBB18_13
; %bb.12:                               ;   in Loop: Header=BB18_3 Depth=1
	s_ashr_i32 s46, s33, 31
	v_add_co_u32 v12, vcc_lo, v16, v10
	s_add_u32 s48, s1, s46
	s_mov_b32 s47, s46
	s_addc_u32 s49, s33, s46
	v_add_co_ci_u32_e64 v13, null, v15, v10, vcc_lo
	s_xor_b64 s[48:49], s[48:49], s[46:47]
	v_cvt_f32_u32_e32 v3, s48
	v_cvt_f32_u32_e32 v11, s49
	s_sub_u32 s56, 0, s48
	s_subb_u32 s57, 0, s49
	v_xor_b32_e32 v13, v13, v10
	v_fmac_f32_e32 v3, 0x4f800000, v11
	v_rcp_f32_e32 v3, v3
	v_mul_f32_e32 v3, 0x5f7ffffc, v3
	v_mul_f32_e32 v11, 0x2f800000, v3
	v_trunc_f32_e32 v11, v11
	v_fmac_f32_e32 v3, 0xcf800000, v11
	v_cvt_u32_f32_e32 v11, v11
	v_cvt_u32_f32_e32 v3, v3
	v_readfirstlane_b32 s0, v11
	v_readfirstlane_b32 s47, v3
	s_mul_i32 s58, s56, s0
	v_xor_b32_e32 v3, v12, v10
	v_xor_b32_e32 v10, s46, v10
	s_mul_hi_u32 s60, s56, s47
	s_mul_i32 s59, s57, s47
	s_add_i32 s58, s60, s58
	s_mul_i32 s61, s56, s47
	s_add_i32 s58, s58, s59
	s_mul_hi_u32 s60, s47, s61
	s_mul_i32 s63, s47, s58
	s_mul_hi_u32 s62, s0, s61
	s_mul_i32 s59, s0, s61
	s_mul_hi_u32 s61, s47, s58
	s_add_u32 s60, s60, s63
	s_addc_u32 s61, 0, s61
	s_mul_hi_u32 s64, s0, s58
	s_add_u32 s59, s60, s59
	s_mul_i32 s58, s0, s58
	s_addc_u32 s59, s61, s62
	s_addc_u32 s60, s64, 0
	s_add_u32 s58, s59, s58
	s_addc_u32 s59, 0, s60
	s_add_u32 s47, s47, s58
	s_cselect_b32 s58, -1, 0
	s_mul_hi_u32 s60, s56, s47
	s_cmp_lg_u32 s58, 0
	s_mul_i32 s58, s56, s47
	s_addc_u32 s0, s0, s59
	s_mul_i32 s57, s57, s47
	s_mul_i32 s56, s56, s0
	s_mul_hi_u32 s59, s47, s58
	s_add_i32 s56, s60, s56
	s_mul_hi_u32 s60, s0, s58
	s_add_i32 s56, s56, s57
	s_mul_i32 s57, s0, s58
	s_mul_i32 s62, s47, s56
	s_mul_hi_u32 s61, s47, s56
	s_add_u32 s59, s59, s62
	s_addc_u32 s61, 0, s61
	s_mul_hi_u32 s58, s0, s56
	s_add_u32 s57, s59, s57
	s_mul_i32 s56, s0, s56
	s_addc_u32 s57, s61, s60
	s_addc_u32 s58, s58, 0
	s_add_u32 s56, s57, s56
	s_addc_u32 s57, 0, s58
	s_add_u32 s47, s47, s56
	s_cselect_b32 s56, -1, 0
	v_mul_hi_u32 v21, v3, s47
	s_cmp_lg_u32 s56, 0
	v_mad_u64_u32 v[17:18], null, v13, s47, 0
	s_addc_u32 s0, s0, s57
	v_mad_u64_u32 v[11:12], null, v3, s0, 0
	v_mad_u64_u32 v[19:20], null, v13, s0, 0
	v_add_co_u32 v11, vcc_lo, v21, v11
	v_add_co_ci_u32_e64 v12, null, 0, v12, vcc_lo
	v_add_co_u32 v11, vcc_lo, v11, v17
	v_add_co_ci_u32_e32 v11, vcc_lo, v12, v18, vcc_lo
	v_add_co_ci_u32_e32 v12, vcc_lo, 0, v20, vcc_lo
	v_add_co_u32 v17, vcc_lo, v11, v19
	v_add_co_ci_u32_e64 v18, null, 0, v12, vcc_lo
	v_mul_lo_u32 v19, s49, v17
	v_mad_u64_u32 v[11:12], null, s48, v17, 0
	v_mul_lo_u32 v20, s48, v18
	v_sub_co_u32 v3, vcc_lo, v3, v11
	v_add3_u32 v12, v12, v20, v19
	v_sub_nc_u32_e32 v19, v13, v12
	v_sub_co_ci_u32_e64 v12, null, v13, v12, vcc_lo
	v_subrev_co_ci_u32_e64 v11, null, s49, v19, vcc_lo
	v_add_co_u32 v19, s0, v17, 2
	v_add_co_ci_u32_e64 v20, null, 0, v18, s0
	v_sub_co_u32 v21, s0, v3, s48
	v_subrev_co_ci_u32_e64 v11, null, 0, v11, s0
	v_cmp_le_u32_e32 vcc_lo, s48, v21
	v_cndmask_b32_e64 v13, 0, -1, vcc_lo
	v_cmp_le_u32_e32 vcc_lo, s49, v11
	v_cndmask_b32_e64 v21, 0, -1, vcc_lo
	;; [unrolled: 2-line block ×4, first 2 shown]
	v_cmp_eq_u32_e32 vcc_lo, s49, v11
	v_cndmask_b32_e32 v11, v21, v13, vcc_lo
	v_add_co_u32 v13, vcc_lo, v17, 1
	v_add_co_ci_u32_e64 v21, null, 0, v18, vcc_lo
	v_cmp_eq_u32_e32 vcc_lo, s49, v12
	v_cndmask_b32_e32 v3, v22, v3, vcc_lo
	v_cmp_ne_u32_e32 vcc_lo, 0, v11
	v_cmp_ne_u32_e64 s0, 0, v3
	v_cndmask_b32_e32 v3, v13, v19, vcc_lo
	v_cndmask_b32_e32 v11, v21, v20, vcc_lo
	v_cndmask_b32_e64 v3, v17, v3, s0
	v_cndmask_b32_e64 v11, v18, v11, s0
	v_xor_b32_e32 v3, v3, v10
	v_xor_b32_e32 v11, v11, v10
	v_sub_co_u32 v12, vcc_lo, v3, v10
	v_sub_co_ci_u32_e64 v13, null, v11, v10, vcc_lo
.LBB18_13:                              ;   in Loop: Header=BB18_3 Depth=1
	s_andn2_saveexec_b32 s0, s5
	s_cbranch_execz .LBB18_15
; %bb.14:                               ;   in Loop: Header=BB18_3 Depth=1
	v_cvt_f32_u32_e32 v3, s1
	s_sub_i32 s5, 0, s1
	v_mov_b32_e32 v13, v2
	v_rcp_iflag_f32_e32 v3, v3
	v_mul_f32_e32 v3, 0x4f7ffffe, v3
	v_cvt_u32_f32_e32 v3, v3
	v_mul_lo_u32 v10, s5, v3
	v_mul_hi_u32 v10, v3, v10
	v_add_nc_u32_e32 v3, v3, v10
	v_mul_hi_u32 v3, v5, v3
	v_mul_lo_u32 v10, v3, s1
	v_add_nc_u32_e32 v11, 1, v3
	v_sub_nc_u32_e32 v10, v5, v10
	v_subrev_nc_u32_e32 v12, s1, v10
	v_cmp_le_u32_e32 vcc_lo, s1, v10
	v_cndmask_b32_e32 v10, v10, v12, vcc_lo
	v_cndmask_b32_e32 v3, v3, v11, vcc_lo
	v_cmp_le_u32_e32 vcc_lo, s1, v10
	v_add_nc_u32_e32 v11, 1, v3
	v_cndmask_b32_e32 v12, v3, v11, vcc_lo
.LBB18_15:                              ;   in Loop: Header=BB18_3 Depth=1
	s_or_b32 exec_lo, exec_lo, s0
	v_or_b32_e32 v3, s35, v13
                                        ; implicit-def: $vgpr10_vgpr11
	s_mov_b32 s0, exec_lo
	v_cmpx_ne_u64_e32 0, v[2:3]
	s_xor_b32 s5, exec_lo, s0
	s_cbranch_execz .LBB18_17
; %bb.16:                               ;   in Loop: Header=BB18_3 Depth=1
	s_ashr_i32 s46, s35, 31
	v_ashrrev_i32_e32 v19, 31, v13
	s_add_u32 s48, s34, s46
	s_mov_b32 s47, s46
	s_addc_u32 s49, s35, s46
	s_xor_b64 s[46:47], s[48:49], s[46:47]
	v_add_co_u32 v11, vcc_lo, v12, v19
	v_cvt_f32_u32_e32 v3, s46
	v_cvt_f32_u32_e32 v10, s47
	s_sub_u32 s49, 0, s46
	s_subb_u32 s56, 0, s47
	v_add_co_ci_u32_e64 v12, null, v13, v19, vcc_lo
	v_fmac_f32_e32 v3, 0x4f800000, v10
	v_xor_b32_e32 v20, v12, v19
	v_rcp_f32_e32 v3, v3
	v_mul_f32_e32 v3, 0x5f7ffffc, v3
	v_mul_f32_e32 v10, 0x2f800000, v3
	v_trunc_f32_e32 v10, v10
	v_fmac_f32_e32 v3, 0xcf800000, v10
	v_cvt_u32_f32_e32 v10, v10
	v_cvt_u32_f32_e32 v3, v3
	v_readfirstlane_b32 s0, v10
	v_readfirstlane_b32 s48, v3
	s_mul_i32 s57, s49, s0
	v_xor_b32_e32 v3, v11, v19
	s_mul_hi_u32 s59, s49, s48
	s_mul_i32 s58, s56, s48
	s_add_i32 s57, s59, s57
	s_mul_i32 s60, s49, s48
	s_add_i32 s57, s57, s58
	s_mul_hi_u32 s59, s48, s60
	s_mul_i32 s62, s48, s57
	s_mul_hi_u32 s61, s0, s60
	s_mul_i32 s58, s0, s60
	s_mul_hi_u32 s60, s48, s57
	s_add_u32 s59, s59, s62
	s_addc_u32 s60, 0, s60
	s_mul_hi_u32 s63, s0, s57
	s_add_u32 s58, s59, s58
	s_mul_i32 s57, s0, s57
	s_addc_u32 s58, s60, s61
	s_addc_u32 s59, s63, 0
	s_add_u32 s57, s58, s57
	s_addc_u32 s58, 0, s59
	s_add_u32 s48, s48, s57
	s_cselect_b32 s57, -1, 0
	s_mul_hi_u32 s59, s49, s48
	s_cmp_lg_u32 s57, 0
	s_mul_i32 s57, s49, s48
	s_addc_u32 s0, s0, s58
	s_mul_i32 s56, s56, s48
	s_mul_i32 s49, s49, s0
	s_mul_hi_u32 s58, s48, s57
	s_add_i32 s49, s59, s49
	s_mul_hi_u32 s59, s0, s57
	s_add_i32 s49, s49, s56
	s_mul_i32 s56, s0, s57
	s_mul_i32 s61, s48, s49
	s_mul_hi_u32 s60, s48, s49
	s_add_u32 s58, s58, s61
	s_addc_u32 s60, 0, s60
	s_mul_hi_u32 s57, s0, s49
	s_add_u32 s56, s58, s56
	s_mul_i32 s49, s0, s49
	s_addc_u32 s56, s60, s59
	s_addc_u32 s57, s57, 0
	s_add_u32 s49, s56, s49
	s_addc_u32 s56, 0, s57
	s_add_u32 s48, s48, s49
	s_cselect_b32 s49, -1, 0
	v_mul_hi_u32 v21, v3, s48
	s_cmp_lg_u32 s49, 0
	v_mad_u64_u32 v[12:13], null, v20, s48, 0
	s_addc_u32 s0, s0, s56
	v_mad_u64_u32 v[10:11], null, v3, s0, 0
	v_mad_u64_u32 v[17:18], null, v20, s0, 0
	v_add_co_u32 v10, vcc_lo, v21, v10
	v_add_co_ci_u32_e64 v11, null, 0, v11, vcc_lo
	v_add_co_u32 v10, vcc_lo, v10, v12
	v_add_co_ci_u32_e32 v10, vcc_lo, v11, v13, vcc_lo
	v_add_co_ci_u32_e32 v11, vcc_lo, 0, v18, vcc_lo
	v_add_co_u32 v10, vcc_lo, v10, v17
	v_add_co_ci_u32_e64 v12, null, 0, v11, vcc_lo
	v_mul_lo_u32 v13, s47, v10
	v_mad_u64_u32 v[10:11], null, s46, v10, 0
	v_mul_lo_u32 v12, s46, v12
	v_sub_co_u32 v3, vcc_lo, v3, v10
	v_add3_u32 v11, v11, v12, v13
	v_cmp_le_u32_e64 s0, s46, v3
	v_sub_nc_u32_e32 v12, v20, v11
	v_sub_co_ci_u32_e64 v11, null, v20, v11, vcc_lo
	v_cndmask_b32_e64 v17, 0, -1, s0
	v_subrev_co_ci_u32_e64 v10, null, s47, v12, vcc_lo
	v_sub_co_u32 v12, vcc_lo, v3, s46
	v_subrev_co_ci_u32_e64 v13, null, 0, v10, vcc_lo
	v_cmp_le_u32_e64 s0, s46, v12
	v_subrev_co_ci_u32_e64 v10, null, s47, v10, vcc_lo
	v_cmp_le_u32_e32 vcc_lo, s47, v11
	v_cndmask_b32_e64 v18, 0, -1, s0
	v_cmp_le_u32_e64 s0, s47, v13
	v_cndmask_b32_e64 v21, 0, -1, vcc_lo
	v_cmp_eq_u32_e32 vcc_lo, s47, v13
	v_cndmask_b32_e64 v20, 0, -1, s0
	v_cmp_eq_u32_e64 s0, s47, v11
	v_cndmask_b32_e32 v18, v20, v18, vcc_lo
	v_sub_co_u32 v20, vcc_lo, v12, s46
	v_subrev_co_ci_u32_e64 v10, null, 0, v10, vcc_lo
	v_cmp_ne_u32_e32 vcc_lo, 0, v18
	v_cndmask_b32_e64 v17, v21, v17, s0
	v_cndmask_b32_e32 v10, v13, v10, vcc_lo
	v_cndmask_b32_e32 v12, v12, v20, vcc_lo
	v_cmp_ne_u32_e32 vcc_lo, 0, v17
	v_cndmask_b32_e32 v3, v3, v12, vcc_lo
	v_cndmask_b32_e32 v10, v11, v10, vcc_lo
                                        ; implicit-def: $vgpr12_vgpr13
	v_xor_b32_e32 v3, v3, v19
	v_xor_b32_e32 v11, v10, v19
	v_sub_co_u32 v10, vcc_lo, v3, v19
	v_sub_co_ci_u32_e64 v11, null, v11, v19, vcc_lo
.LBB18_17:                              ;   in Loop: Header=BB18_3 Depth=1
	s_andn2_saveexec_b32 s0, s5
	s_cbranch_execz .LBB18_19
; %bb.18:                               ;   in Loop: Header=BB18_3 Depth=1
	v_cvt_f32_u32_e32 v3, s34
	s_sub_i32 s5, 0, s34
	v_mov_b32_e32 v11, v2
	v_rcp_iflag_f32_e32 v3, v3
	v_mul_f32_e32 v3, 0x4f7ffffe, v3
	v_cvt_u32_f32_e32 v3, v3
	v_mul_lo_u32 v10, s5, v3
	v_mul_hi_u32 v10, v3, v10
	v_add_nc_u32_e32 v3, v3, v10
	v_mul_hi_u32 v3, v12, v3
	v_mul_lo_u32 v3, v3, s34
	v_sub_nc_u32_e32 v3, v12, v3
	v_subrev_nc_u32_e32 v10, s34, v3
	v_cmp_le_u32_e32 vcc_lo, s34, v3
	v_cndmask_b32_e32 v3, v3, v10, vcc_lo
	v_subrev_nc_u32_e32 v10, s34, v3
	v_cmp_le_u32_e32 vcc_lo, s34, v3
	v_cndmask_b32_e32 v10, v3, v10, vcc_lo
.LBB18_19:                              ;   in Loop: Header=BB18_3 Depth=1
	s_or_b32 exec_lo, exec_lo, s0
	v_mul_lo_u32 v3, v7, s36
	v_mul_lo_u32 v12, v6, s37
	v_mad_u64_u32 v[6:7], null, v6, s36, 0
	v_mul_lo_u32 v19, s11, v8
	v_mul_lo_u32 v20, s10, v9
	;; [unrolled: 1-line block ×4, first 2 shown]
	s_mov_b32 s5, -1
	s_mov_b32 s0, -1
	v_add3_u32 v7, v7, v12, v3
	v_sub_co_u32 v3, vcc_lo, v16, v6
	s_mov_b32 s46, exec_lo
	v_sub_co_ci_u32_e64 v12, null, v15, v7, vcc_lo
	v_mul_lo_u32 v13, s9, v3
	v_mad_u64_u32 v[6:7], null, s8, v3, 0
	v_mul_lo_u32 v17, s8, v12
	v_mad_u64_u32 v[15:16], null, s10, v8, 0
	v_add3_u32 v7, v7, v17, v13
	v_mad_u64_u32 v[17:18], null, s12, v10, 0
	v_add3_u32 v16, v16, v20, v19
	v_lshlrev_b64 v[6:7], 3, v[6:7]
	v_lshlrev_b64 v[15:16], 3, v[15:16]
	v_add3_u32 v18, v18, v22, v21
	v_add_co_u32 v13, vcc_lo, s6, v6
	v_add_co_ci_u32_e64 v19, null, s7, v7, vcc_lo
	v_lshlrev_b64 v[6:7], 3, v[17:18]
	v_add_co_u32 v13, vcc_lo, v13, v15
	v_add_co_ci_u32_e64 v15, null, v19, v16, vcc_lo
	v_add_co_u32 v6, vcc_lo, v13, v6
	v_add_co_ci_u32_e64 v7, null, v15, v7, vcc_lo
	global_load_dwordx2 v[6:7], v[6:7], off
	s_waitcnt vmcnt(0)
	v_cmpx_ne_u64_e64 s[42:43], v[6:7]
	s_cbranch_execz .LBB18_26
; %bb.20:                               ;   in Loop: Header=BB18_3 Depth=1
	v_cmp_lt_i64_e32 vcc_lo, -1, v[6:7]
	v_cmp_gt_i64_e64 s0, s[44:45], v[6:7]
	s_mov_b32 s47, 0
	s_and_b32 s48, vcc_lo, s0
	s_and_saveexec_b32 s0, s48
	s_cbranch_execz .LBB18_25
; %bb.21:                               ;   in Loop: Header=BB18_3 Depth=1
	s_andn2_b32 vcc_lo, exec_lo, s51
	s_cbranch_vccnz .LBB18_23
; %bb.22:                               ;   in Loop: Header=BB18_3 Depth=1
	v_lshlrev_b64 v[15:16], 1, v[6:7]
	v_add_co_u32 v15, vcc_lo, s40, v15
	v_add_co_ci_u32_e64 v16, null, s41, v16, vcc_lo
	global_load_ushort v13, v[15:16], off
	s_branch .LBB18_24
.LBB18_23:                              ;   in Loop: Header=BB18_3 Depth=1
	v_mov_b32_e32 v13, 0x3c00
.LBB18_24:                              ;   in Loop: Header=BB18_3 Depth=1
	v_mul_lo_u32 v17, s17, v3
	v_mul_lo_u32 v18, s16, v12
	v_mad_u64_u32 v[15:16], null, s16, v3, 0
	v_mul_lo_u32 v21, s19, v8
	v_mul_lo_u32 v22, s18, v9
	;; [unrolled: 1-line block ×4, first 2 shown]
	v_mad_u64_u32 v[19:20], null, s20, v10, 0
	v_add3_u32 v16, v16, v18, v17
	v_mad_u64_u32 v[17:18], null, s18, v8, 0
	v_mul_lo_u32 v12, s24, v12
	s_mov_b32 s47, exec_lo
	v_lshlrev_b64 v[15:16], 1, v[15:16]
	v_add3_u32 v20, v20, v24, v23
	v_mul_lo_u32 v23, s30, v11
	v_add3_u32 v18, v18, v22, v21
	v_add_co_u32 v21, vcc_lo, s14, v15
	v_add_co_ci_u32_e64 v22, null, s15, v16, vcc_lo
	v_lshlrev_b64 v[17:18], 1, v[17:18]
	v_lshlrev_b64 v[15:16], 1, v[19:20]
	v_mul_lo_u32 v19, s26, v7
	v_mul_lo_u32 v20, s29, v8
	v_add_co_u32 v17, vcc_lo, v21, v17
	v_add_co_ci_u32_e64 v18, null, v22, v18, vcc_lo
	v_mul_lo_u32 v21, s28, v9
	v_add_co_u32 v15, vcc_lo, v17, v15
	v_add_co_ci_u32_e64 v16, null, v18, v16, vcc_lo
	v_mul_lo_u32 v18, s25, v3
	v_mad_u64_u32 v[8:9], null, s28, v8, 0
	global_load_ushort v17, v[15:16], off
	v_mad_u64_u32 v[15:16], null, s24, v3, 0
	v_mul_lo_u32 v3, s27, v6
	v_mad_u64_u32 v[6:7], null, s26, v6, 0
	v_mul_lo_u32 v22, s31, v10
	v_mad_u64_u32 v[10:11], null, s30, v10, 0
	v_add3_u32 v16, v16, v12, v18
	v_add3_u32 v9, v9, v21, v20
	;; [unrolled: 1-line block ×3, first 2 shown]
	v_lshlrev_b64 v[15:16], 1, v[15:16]
	v_add3_u32 v11, v11, v23, v22
	v_lshlrev_b64 v[8:9], 1, v[8:9]
	v_lshlrev_b64 v[6:7], 1, v[6:7]
	v_add_co_u32 v3, vcc_lo, s22, v15
	v_add_co_ci_u32_e64 v12, null, s23, v16, vcc_lo
	v_add_co_u32 v3, vcc_lo, v3, v6
	v_add_co_ci_u32_e64 v12, null, v12, v7, vcc_lo
	v_lshlrev_b64 v[6:7], 1, v[10:11]
	v_add_co_u32 v3, vcc_lo, v3, v8
	v_add_co_ci_u32_e64 v8, null, v12, v9, vcc_lo
	v_add_co_u32 v6, vcc_lo, v3, v6
	v_add_co_ci_u32_e64 v7, null, v8, v7, vcc_lo
	s_waitcnt vmcnt(0)
	v_mul_f16_e64 v9, v17, -v13
	global_store_short v[6:7], v9, off
.LBB18_25:                              ;   in Loop: Header=BB18_3 Depth=1
	s_or_b32 exec_lo, exec_lo, s0
	s_orn2_b32 s0, s47, exec_lo
.LBB18_26:                              ;   in Loop: Header=BB18_3 Depth=1
	s_or_b32 exec_lo, exec_lo, s46
	s_or_b32 s55, s55, exec_lo
	s_and_saveexec_b32 s46, s0
	s_cbranch_execz .LBB18_2
; %bb.27:                               ;   in Loop: Header=BB18_3 Depth=1
	v_add_co_u32 v0, vcc_lo, v0, s50
	v_add_co_ci_u32_e64 v1, null, 0, v1, vcc_lo
	v_add_co_u32 v4, s0, v4, 0
	v_add_co_ci_u32_e64 v5, null, s53, v5, s0
	v_cmp_le_i64_e32 vcc_lo, s[2:3], v[0:1]
	s_andn2_b32 s55, s55, exec_lo
	s_orn2_b32 s5, vcc_lo, exec_lo
	s_branch .LBB18_2
.LBB18_28:
	s_or_b32 exec_lo, exec_lo, s52
	s_and_saveexec_b32 s0, s54
	s_xor_b32 s0, exec_lo, s0
	s_cbranch_execnz .LBB18_30
.LBB18_29:
	s_endpgm
.LBB18_30:
	s_trap 2
	; divergent unreachable
	s_endpgm
	.section	.rodata,"a",@progbits
	.p2align	6, 0x0
	.amdhsa_kernel _ZN2at6native12_GLOBAL__N_136nll_loss2d_backward_no_reduce_kernelIN3c104HalfEEEvlN5torch10headeronly6detail27GenericPackedTensorAccessorINS7_14TensorAccessorINS3_8ArrayRefIlEElLm2ENS6_16DefaultPtrTraitsElEENS_6detail16IndexBoundsCheckILm3ElEElLm3ESC_lEENS8_INS9_ISB_T_Lm2ESC_lEESG_SI_Lm3ESC_lEENS8_INS9_ISB_SI_Lm3ESC_lEENSF_ILm4ElEESI_Lm4ESC_lEEPKSI_l
		.amdhsa_group_segment_fixed_size 0
		.amdhsa_private_segment_fixed_size 0
		.amdhsa_kernarg_size 464
		.amdhsa_user_sgpr_count 6
		.amdhsa_user_sgpr_private_segment_buffer 1
		.amdhsa_user_sgpr_dispatch_ptr 0
		.amdhsa_user_sgpr_queue_ptr 0
		.amdhsa_user_sgpr_kernarg_segment_ptr 1
		.amdhsa_user_sgpr_dispatch_id 0
		.amdhsa_user_sgpr_flat_scratch_init 0
		.amdhsa_user_sgpr_private_segment_size 0
		.amdhsa_wavefront_size32 1
		.amdhsa_uses_dynamic_stack 0
		.amdhsa_system_sgpr_private_segment_wavefront_offset 0
		.amdhsa_system_sgpr_workgroup_id_x 1
		.amdhsa_system_sgpr_workgroup_id_y 0
		.amdhsa_system_sgpr_workgroup_id_z 0
		.amdhsa_system_sgpr_workgroup_info 0
		.amdhsa_system_vgpr_workitem_id 0
		.amdhsa_next_free_vgpr 25
		.amdhsa_next_free_sgpr 65
		.amdhsa_reserve_vcc 1
		.amdhsa_reserve_flat_scratch 0
		.amdhsa_float_round_mode_32 0
		.amdhsa_float_round_mode_16_64 0
		.amdhsa_float_denorm_mode_32 3
		.amdhsa_float_denorm_mode_16_64 3
		.amdhsa_dx10_clamp 1
		.amdhsa_ieee_mode 1
		.amdhsa_fp16_overflow 0
		.amdhsa_workgroup_processor_mode 1
		.amdhsa_memory_ordered 1
		.amdhsa_forward_progress 1
		.amdhsa_shared_vgpr_count 0
		.amdhsa_exception_fp_ieee_invalid_op 0
		.amdhsa_exception_fp_denorm_src 0
		.amdhsa_exception_fp_ieee_div_zero 0
		.amdhsa_exception_fp_ieee_overflow 0
		.amdhsa_exception_fp_ieee_underflow 0
		.amdhsa_exception_fp_ieee_inexact 0
		.amdhsa_exception_int_div_zero 0
	.end_amdhsa_kernel
	.section	.text._ZN2at6native12_GLOBAL__N_136nll_loss2d_backward_no_reduce_kernelIN3c104HalfEEEvlN5torch10headeronly6detail27GenericPackedTensorAccessorINS7_14TensorAccessorINS3_8ArrayRefIlEElLm2ENS6_16DefaultPtrTraitsElEENS_6detail16IndexBoundsCheckILm3ElEElLm3ESC_lEENS8_INS9_ISB_T_Lm2ESC_lEESG_SI_Lm3ESC_lEENS8_INS9_ISB_SI_Lm3ESC_lEENSF_ILm4ElEESI_Lm4ESC_lEEPKSI_l,"axG",@progbits,_ZN2at6native12_GLOBAL__N_136nll_loss2d_backward_no_reduce_kernelIN3c104HalfEEEvlN5torch10headeronly6detail27GenericPackedTensorAccessorINS7_14TensorAccessorINS3_8ArrayRefIlEElLm2ENS6_16DefaultPtrTraitsElEENS_6detail16IndexBoundsCheckILm3ElEElLm3ESC_lEENS8_INS9_ISB_T_Lm2ESC_lEESG_SI_Lm3ESC_lEENS8_INS9_ISB_SI_Lm3ESC_lEENSF_ILm4ElEESI_Lm4ESC_lEEPKSI_l,comdat
.Lfunc_end18:
	.size	_ZN2at6native12_GLOBAL__N_136nll_loss2d_backward_no_reduce_kernelIN3c104HalfEEEvlN5torch10headeronly6detail27GenericPackedTensorAccessorINS7_14TensorAccessorINS3_8ArrayRefIlEElLm2ENS6_16DefaultPtrTraitsElEENS_6detail16IndexBoundsCheckILm3ElEElLm3ESC_lEENS8_INS9_ISB_T_Lm2ESC_lEESG_SI_Lm3ESC_lEENS8_INS9_ISB_SI_Lm3ESC_lEENSF_ILm4ElEESI_Lm4ESC_lEEPKSI_l, .Lfunc_end18-_ZN2at6native12_GLOBAL__N_136nll_loss2d_backward_no_reduce_kernelIN3c104HalfEEEvlN5torch10headeronly6detail27GenericPackedTensorAccessorINS7_14TensorAccessorINS3_8ArrayRefIlEElLm2ENS6_16DefaultPtrTraitsElEENS_6detail16IndexBoundsCheckILm3ElEElLm3ESC_lEENS8_INS9_ISB_T_Lm2ESC_lEESG_SI_Lm3ESC_lEENS8_INS9_ISB_SI_Lm3ESC_lEENSF_ILm4ElEESI_Lm4ESC_lEEPKSI_l
                                        ; -- End function
	.set _ZN2at6native12_GLOBAL__N_136nll_loss2d_backward_no_reduce_kernelIN3c104HalfEEEvlN5torch10headeronly6detail27GenericPackedTensorAccessorINS7_14TensorAccessorINS3_8ArrayRefIlEElLm2ENS6_16DefaultPtrTraitsElEENS_6detail16IndexBoundsCheckILm3ElEElLm3ESC_lEENS8_INS9_ISB_T_Lm2ESC_lEESG_SI_Lm3ESC_lEENS8_INS9_ISB_SI_Lm3ESC_lEENSF_ILm4ElEESI_Lm4ESC_lEEPKSI_l.num_vgpr, 25
	.set _ZN2at6native12_GLOBAL__N_136nll_loss2d_backward_no_reduce_kernelIN3c104HalfEEEvlN5torch10headeronly6detail27GenericPackedTensorAccessorINS7_14TensorAccessorINS3_8ArrayRefIlEElLm2ENS6_16DefaultPtrTraitsElEENS_6detail16IndexBoundsCheckILm3ElEElLm3ESC_lEENS8_INS9_ISB_T_Lm2ESC_lEESG_SI_Lm3ESC_lEENS8_INS9_ISB_SI_Lm3ESC_lEENSF_ILm4ElEESI_Lm4ESC_lEEPKSI_l.num_agpr, 0
	.set _ZN2at6native12_GLOBAL__N_136nll_loss2d_backward_no_reduce_kernelIN3c104HalfEEEvlN5torch10headeronly6detail27GenericPackedTensorAccessorINS7_14TensorAccessorINS3_8ArrayRefIlEElLm2ENS6_16DefaultPtrTraitsElEENS_6detail16IndexBoundsCheckILm3ElEElLm3ESC_lEENS8_INS9_ISB_T_Lm2ESC_lEESG_SI_Lm3ESC_lEENS8_INS9_ISB_SI_Lm3ESC_lEENSF_ILm4ElEESI_Lm4ESC_lEEPKSI_l.numbered_sgpr, 65
	.set _ZN2at6native12_GLOBAL__N_136nll_loss2d_backward_no_reduce_kernelIN3c104HalfEEEvlN5torch10headeronly6detail27GenericPackedTensorAccessorINS7_14TensorAccessorINS3_8ArrayRefIlEElLm2ENS6_16DefaultPtrTraitsElEENS_6detail16IndexBoundsCheckILm3ElEElLm3ESC_lEENS8_INS9_ISB_T_Lm2ESC_lEESG_SI_Lm3ESC_lEENS8_INS9_ISB_SI_Lm3ESC_lEENSF_ILm4ElEESI_Lm4ESC_lEEPKSI_l.num_named_barrier, 0
	.set _ZN2at6native12_GLOBAL__N_136nll_loss2d_backward_no_reduce_kernelIN3c104HalfEEEvlN5torch10headeronly6detail27GenericPackedTensorAccessorINS7_14TensorAccessorINS3_8ArrayRefIlEElLm2ENS6_16DefaultPtrTraitsElEENS_6detail16IndexBoundsCheckILm3ElEElLm3ESC_lEENS8_INS9_ISB_T_Lm2ESC_lEESG_SI_Lm3ESC_lEENS8_INS9_ISB_SI_Lm3ESC_lEENSF_ILm4ElEESI_Lm4ESC_lEEPKSI_l.private_seg_size, 0
	.set _ZN2at6native12_GLOBAL__N_136nll_loss2d_backward_no_reduce_kernelIN3c104HalfEEEvlN5torch10headeronly6detail27GenericPackedTensorAccessorINS7_14TensorAccessorINS3_8ArrayRefIlEElLm2ENS6_16DefaultPtrTraitsElEENS_6detail16IndexBoundsCheckILm3ElEElLm3ESC_lEENS8_INS9_ISB_T_Lm2ESC_lEESG_SI_Lm3ESC_lEENS8_INS9_ISB_SI_Lm3ESC_lEENSF_ILm4ElEESI_Lm4ESC_lEEPKSI_l.uses_vcc, 1
	.set _ZN2at6native12_GLOBAL__N_136nll_loss2d_backward_no_reduce_kernelIN3c104HalfEEEvlN5torch10headeronly6detail27GenericPackedTensorAccessorINS7_14TensorAccessorINS3_8ArrayRefIlEElLm2ENS6_16DefaultPtrTraitsElEENS_6detail16IndexBoundsCheckILm3ElEElLm3ESC_lEENS8_INS9_ISB_T_Lm2ESC_lEESG_SI_Lm3ESC_lEENS8_INS9_ISB_SI_Lm3ESC_lEENSF_ILm4ElEESI_Lm4ESC_lEEPKSI_l.uses_flat_scratch, 0
	.set _ZN2at6native12_GLOBAL__N_136nll_loss2d_backward_no_reduce_kernelIN3c104HalfEEEvlN5torch10headeronly6detail27GenericPackedTensorAccessorINS7_14TensorAccessorINS3_8ArrayRefIlEElLm2ENS6_16DefaultPtrTraitsElEENS_6detail16IndexBoundsCheckILm3ElEElLm3ESC_lEENS8_INS9_ISB_T_Lm2ESC_lEESG_SI_Lm3ESC_lEENS8_INS9_ISB_SI_Lm3ESC_lEENSF_ILm4ElEESI_Lm4ESC_lEEPKSI_l.has_dyn_sized_stack, 0
	.set _ZN2at6native12_GLOBAL__N_136nll_loss2d_backward_no_reduce_kernelIN3c104HalfEEEvlN5torch10headeronly6detail27GenericPackedTensorAccessorINS7_14TensorAccessorINS3_8ArrayRefIlEElLm2ENS6_16DefaultPtrTraitsElEENS_6detail16IndexBoundsCheckILm3ElEElLm3ESC_lEENS8_INS9_ISB_T_Lm2ESC_lEESG_SI_Lm3ESC_lEENS8_INS9_ISB_SI_Lm3ESC_lEENSF_ILm4ElEESI_Lm4ESC_lEEPKSI_l.has_recursion, 0
	.set _ZN2at6native12_GLOBAL__N_136nll_loss2d_backward_no_reduce_kernelIN3c104HalfEEEvlN5torch10headeronly6detail27GenericPackedTensorAccessorINS7_14TensorAccessorINS3_8ArrayRefIlEElLm2ENS6_16DefaultPtrTraitsElEENS_6detail16IndexBoundsCheckILm3ElEElLm3ESC_lEENS8_INS9_ISB_T_Lm2ESC_lEESG_SI_Lm3ESC_lEENS8_INS9_ISB_SI_Lm3ESC_lEENSF_ILm4ElEESI_Lm4ESC_lEEPKSI_l.has_indirect_call, 0
	.section	.AMDGPU.csdata,"",@progbits
; Kernel info:
; codeLenInByte = 4128
; TotalNumSgprs: 67
; NumVgprs: 25
; ScratchSize: 0
; MemoryBound: 0
; FloatMode: 240
; IeeeMode: 1
; LDSByteSize: 0 bytes/workgroup (compile time only)
; SGPRBlocks: 0
; VGPRBlocks: 3
; NumSGPRsForWavesPerEU: 67
; NumVGPRsForWavesPerEU: 25
; Occupancy: 16
; WaveLimiterHint : 1
; COMPUTE_PGM_RSRC2:SCRATCH_EN: 0
; COMPUTE_PGM_RSRC2:USER_SGPR: 6
; COMPUTE_PGM_RSRC2:TRAP_HANDLER: 0
; COMPUTE_PGM_RSRC2:TGID_X_EN: 1
; COMPUTE_PGM_RSRC2:TGID_Y_EN: 0
; COMPUTE_PGM_RSRC2:TGID_Z_EN: 0
; COMPUTE_PGM_RSRC2:TIDIG_COMP_CNT: 0
	.section	.text._ZN2at6native12_GLOBAL__N_136nll_loss2d_backward_no_reduce_kernelIN3c108BFloat16EEEvlN5torch10headeronly6detail27GenericPackedTensorAccessorINS7_14TensorAccessorINS3_8ArrayRefIlEElLm2ENS6_16DefaultPtrTraitsElEENS_6detail16IndexBoundsCheckILm3ElEElLm3ESC_lEENS8_INS9_ISB_T_Lm2ESC_lEESG_SI_Lm3ESC_lEENS8_INS9_ISB_SI_Lm3ESC_lEENSF_ILm4ElEESI_Lm4ESC_lEEPKSI_l,"axG",@progbits,_ZN2at6native12_GLOBAL__N_136nll_loss2d_backward_no_reduce_kernelIN3c108BFloat16EEEvlN5torch10headeronly6detail27GenericPackedTensorAccessorINS7_14TensorAccessorINS3_8ArrayRefIlEElLm2ENS6_16DefaultPtrTraitsElEENS_6detail16IndexBoundsCheckILm3ElEElLm3ESC_lEENS8_INS9_ISB_T_Lm2ESC_lEESG_SI_Lm3ESC_lEENS8_INS9_ISB_SI_Lm3ESC_lEENSF_ILm4ElEESI_Lm4ESC_lEEPKSI_l,comdat
	.globl	_ZN2at6native12_GLOBAL__N_136nll_loss2d_backward_no_reduce_kernelIN3c108BFloat16EEEvlN5torch10headeronly6detail27GenericPackedTensorAccessorINS7_14TensorAccessorINS3_8ArrayRefIlEElLm2ENS6_16DefaultPtrTraitsElEENS_6detail16IndexBoundsCheckILm3ElEElLm3ESC_lEENS8_INS9_ISB_T_Lm2ESC_lEESG_SI_Lm3ESC_lEENS8_INS9_ISB_SI_Lm3ESC_lEENSF_ILm4ElEESI_Lm4ESC_lEEPKSI_l ; -- Begin function _ZN2at6native12_GLOBAL__N_136nll_loss2d_backward_no_reduce_kernelIN3c108BFloat16EEEvlN5torch10headeronly6detail27GenericPackedTensorAccessorINS7_14TensorAccessorINS3_8ArrayRefIlEElLm2ENS6_16DefaultPtrTraitsElEENS_6detail16IndexBoundsCheckILm3ElEElLm3ESC_lEENS8_INS9_ISB_T_Lm2ESC_lEESG_SI_Lm3ESC_lEENS8_INS9_ISB_SI_Lm3ESC_lEENSF_ILm4ElEESI_Lm4ESC_lEEPKSI_l
	.p2align	8
	.type	_ZN2at6native12_GLOBAL__N_136nll_loss2d_backward_no_reduce_kernelIN3c108BFloat16EEEvlN5torch10headeronly6detail27GenericPackedTensorAccessorINS7_14TensorAccessorINS3_8ArrayRefIlEElLm2ENS6_16DefaultPtrTraitsElEENS_6detail16IndexBoundsCheckILm3ElEElLm3ESC_lEENS8_INS9_ISB_T_Lm2ESC_lEESG_SI_Lm3ESC_lEENS8_INS9_ISB_SI_Lm3ESC_lEENSF_ILm4ElEESI_Lm4ESC_lEEPKSI_l,@function
_ZN2at6native12_GLOBAL__N_136nll_loss2d_backward_no_reduce_kernelIN3c108BFloat16EEEvlN5torch10headeronly6detail27GenericPackedTensorAccessorINS7_14TensorAccessorINS3_8ArrayRefIlEElLm2ENS6_16DefaultPtrTraitsElEENS_6detail16IndexBoundsCheckILm3ElEElLm3ESC_lEENS8_INS9_ISB_T_Lm2ESC_lEESG_SI_Lm3ESC_lEENS8_INS9_ISB_SI_Lm3ESC_lEENSF_ILm4ElEESI_Lm4ESC_lEEPKSI_l: ; @_ZN2at6native12_GLOBAL__N_136nll_loss2d_backward_no_reduce_kernelIN3c108BFloat16EEEvlN5torch10headeronly6detail27GenericPackedTensorAccessorINS7_14TensorAccessorINS3_8ArrayRefIlEElLm2ENS6_16DefaultPtrTraitsElEENS_6detail16IndexBoundsCheckILm3ElEElLm3ESC_lEENS8_INS9_ISB_T_Lm2ESC_lEESG_SI_Lm3ESC_lEENS8_INS9_ISB_SI_Lm3ESC_lEENSF_ILm4ElEESI_Lm4ESC_lEEPKSI_l
; %bb.0:
	s_clause 0x1
	s_load_dword s7, s[4:5], 0xdc
	s_load_dwordx2 s[2:3], s[4:5], 0x0
	v_mov_b32_e32 v2, 0
	s_add_u32 s0, s4, 0xd0
	s_addc_u32 s1, s5, 0
	v_mov_b32_e32 v1, v2
	s_waitcnt lgkmcnt(0)
	s_and_b32 s46, s7, 0xffff
	v_mad_u64_u32 v[0:1], null, s46, s6, v[0:1]
	s_mov_b32 s6, exec_lo
	v_cmpx_gt_i64_e64 s[2:3], v[0:1]
	s_cbranch_execz .LBB19_29
; %bb.1:
	s_clause 0x1
	s_load_dwordx4 s[36:39], s[4:5], 0x10
	s_load_dwordx4 s[40:43], s[4:5], 0xc0
	s_load_dword s0, s[0:1], 0x0
	s_clause 0x5
	s_load_dwordx2 s[6:7], s[4:5], 0x8
	s_load_dwordx2 s[34:35], s[4:5], 0x20
	s_load_dwordx8 s[8:15], s[4:5], 0x28
	s_load_dwordx2 s[44:45], s[4:5], 0x88
	s_load_dwordx8 s[16:23], s[4:5], 0x60
	s_load_dwordx8 s[24:31], s[4:5], 0xa0
	s_mov_b32 s52, 0
                                        ; implicit-def: $sgpr54
                                        ; implicit-def: $sgpr55
	s_waitcnt lgkmcnt(0)
	v_cvt_f32_u32_e32 v3, s36
	s_mul_i32 s4, s38, s37
	s_mul_hi_u32 s5, s38, s36
	s_mul_i32 s33, s39, s36
	s_add_i32 s4, s5, s4
	v_rcp_iflag_f32_e32 v4, v3
	v_mov_b32_e32 v3, v0
	s_add_i32 s33, s4, s33
	s_cmp_lg_u64 s[40:41], 0
	s_mul_i32 s50, s0, s46
	s_mul_i32 s1, s38, s36
	s_cselect_b32 s51, -1, 0
	s_mov_b32 s53, s50
	s_ashr_i32 s4, s37, 31
	v_mul_f32_e32 v4, 0x4f7ffffe, v4
	v_cvt_u32_f32_e32 v14, v4
	v_mov_b32_e32 v5, v3
	v_mov_b32_e32 v4, v2
	s_branch .LBB19_3
.LBB19_2:                               ;   in Loop: Header=BB19_3 Depth=1
	s_or_b32 exec_lo, exec_lo, s46
	s_and_b32 s0, exec_lo, s5
	s_or_b32 s52, s0, s52
	s_andn2_b32 s0, s54, exec_lo
	s_and_b32 s5, s55, exec_lo
	s_or_b32 s54, s0, s5
	s_andn2_b32 exec_lo, exec_lo, s52
	s_cbranch_execz .LBB19_28
.LBB19_3:                               ; =>This Inner Loop Header: Depth=1
	v_ashrrev_i32_e32 v15, 31, v5
	v_mov_b32_e32 v16, v5
                                        ; implicit-def: $vgpr6_vgpr7
	s_mov_b32 s0, exec_lo
	v_or_b32_e32 v3, s37, v15
	v_ashrrev_i32_e32 v10, 31, v15
	v_cmpx_ne_u64_e32 0, v[2:3]
	s_xor_b32 s48, exec_lo, s0
	s_cbranch_execz .LBB19_5
; %bb.4:                                ;   in Loop: Header=BB19_3 Depth=1
	s_add_u32 s46, s36, s4
	s_mov_b32 s5, s4
	s_addc_u32 s47, s37, s4
	v_add_co_u32 v7, vcc_lo, v16, v10
	s_xor_b64 s[46:47], s[46:47], s[4:5]
	v_add_co_ci_u32_e64 v8, null, v15, v10, vcc_lo
	v_cvt_f32_u32_e32 v3, s46
	v_cvt_f32_u32_e32 v6, s47
	s_sub_u32 s49, 0, s46
	s_subb_u32 s56, 0, s47
	v_xor_b32_e32 v13, v8, v10
	v_fmac_f32_e32 v3, 0x4f800000, v6
	v_rcp_f32_e32 v3, v3
	v_mul_f32_e32 v3, 0x5f7ffffc, v3
	v_mul_f32_e32 v6, 0x2f800000, v3
	v_trunc_f32_e32 v6, v6
	v_fmac_f32_e32 v3, 0xcf800000, v6
	v_cvt_u32_f32_e32 v6, v6
	v_cvt_u32_f32_e32 v3, v3
	v_readfirstlane_b32 s0, v6
	v_readfirstlane_b32 s5, v3
	s_mul_i32 s57, s49, s0
	v_xor_b32_e32 v3, v7, v10
	s_mul_hi_u32 s59, s49, s5
	s_mul_i32 s58, s56, s5
	s_add_i32 s57, s59, s57
	s_mul_i32 s60, s49, s5
	s_add_i32 s57, s57, s58
	s_mul_hi_u32 s59, s5, s60
	s_mul_i32 s62, s5, s57
	s_mul_hi_u32 s61, s0, s60
	s_mul_i32 s58, s0, s60
	s_mul_hi_u32 s60, s5, s57
	s_add_u32 s59, s59, s62
	s_addc_u32 s60, 0, s60
	s_mul_hi_u32 s63, s0, s57
	s_add_u32 s58, s59, s58
	s_mul_i32 s57, s0, s57
	s_addc_u32 s58, s60, s61
	s_addc_u32 s59, s63, 0
	s_add_u32 s57, s58, s57
	s_addc_u32 s58, 0, s59
	s_add_u32 s5, s5, s57
	s_cselect_b32 s57, -1, 0
	s_mul_hi_u32 s59, s49, s5
	s_cmp_lg_u32 s57, 0
	s_mul_i32 s57, s49, s5
	s_addc_u32 s0, s0, s58
	s_mul_i32 s56, s56, s5
	s_mul_i32 s49, s49, s0
	s_mul_hi_u32 s58, s5, s57
	s_add_i32 s49, s59, s49
	s_mul_hi_u32 s59, s0, s57
	s_add_i32 s49, s49, s56
	s_mul_i32 s56, s0, s57
	s_mul_i32 s61, s5, s49
	s_mul_hi_u32 s60, s5, s49
	s_add_u32 s58, s58, s61
	s_addc_u32 s60, 0, s60
	s_mul_hi_u32 s57, s0, s49
	s_add_u32 s56, s58, s56
	s_mul_i32 s49, s0, s49
	s_addc_u32 s56, s60, s59
	s_addc_u32 s57, s57, 0
	s_add_u32 s49, s56, s49
	s_addc_u32 s56, 0, s57
	s_add_u32 s5, s5, s49
	s_cselect_b32 s49, -1, 0
	v_mul_hi_u32 v17, v3, s5
	s_cmp_lg_u32 s49, 0
	v_mad_u64_u32 v[8:9], null, v13, s5, 0
	s_addc_u32 s0, s0, s56
	v_mad_u64_u32 v[6:7], null, v3, s0, 0
	v_mad_u64_u32 v[11:12], null, v13, s0, 0
	v_add_co_u32 v6, vcc_lo, v17, v6
	v_add_co_ci_u32_e64 v7, null, 0, v7, vcc_lo
	v_add_co_u32 v6, vcc_lo, v6, v8
	v_add_co_ci_u32_e32 v6, vcc_lo, v7, v9, vcc_lo
	v_add_co_ci_u32_e32 v7, vcc_lo, 0, v12, vcc_lo
	v_add_co_u32 v8, vcc_lo, v6, v11
	v_add_co_ci_u32_e64 v9, null, 0, v7, vcc_lo
	v_mul_lo_u32 v11, s47, v8
	v_mad_u64_u32 v[6:7], null, s46, v8, 0
	v_mul_lo_u32 v12, s46, v9
	v_sub_co_u32 v3, vcc_lo, v3, v6
	v_add3_u32 v7, v7, v12, v11
	v_sub_nc_u32_e32 v11, v13, v7
	v_sub_co_ci_u32_e64 v7, null, v13, v7, vcc_lo
	v_subrev_co_ci_u32_e64 v6, null, s47, v11, vcc_lo
	v_add_co_u32 v11, s0, v8, 2
	v_add_co_ci_u32_e64 v12, null, 0, v9, s0
	v_sub_co_u32 v17, s0, v3, s46
	v_subrev_co_ci_u32_e64 v6, null, 0, v6, s0
	v_cmp_le_u32_e32 vcc_lo, s46, v17
	v_cndmask_b32_e64 v13, 0, -1, vcc_lo
	v_cmp_le_u32_e32 vcc_lo, s47, v6
	v_cndmask_b32_e64 v17, 0, -1, vcc_lo
	;; [unrolled: 2-line block ×4, first 2 shown]
	v_cmp_eq_u32_e32 vcc_lo, s47, v6
	v_cndmask_b32_e32 v6, v17, v13, vcc_lo
	v_add_co_u32 v13, vcc_lo, v8, 1
	v_add_co_ci_u32_e64 v17, null, 0, v9, vcc_lo
	v_cmp_eq_u32_e32 vcc_lo, s47, v7
	v_xor_b32_e32 v7, s4, v10
	v_cndmask_b32_e32 v3, v18, v3, vcc_lo
	v_cmp_ne_u32_e32 vcc_lo, 0, v6
	v_cmp_ne_u32_e64 s0, 0, v3
	v_cndmask_b32_e32 v3, v13, v11, vcc_lo
	v_cndmask_b32_e32 v6, v17, v12, vcc_lo
	v_cndmask_b32_e64 v3, v8, v3, s0
	v_cndmask_b32_e64 v6, v9, v6, s0
	v_xor_b32_e32 v3, v3, v7
	v_xor_b32_e32 v8, v6, v7
	v_sub_co_u32 v6, vcc_lo, v3, v7
	v_sub_co_ci_u32_e64 v7, null, v8, v7, vcc_lo
.LBB19_5:                               ;   in Loop: Header=BB19_3 Depth=1
	s_andn2_saveexec_b32 s0, s48
	s_cbranch_execz .LBB19_7
; %bb.6:                                ;   in Loop: Header=BB19_3 Depth=1
	s_sub_i32 s5, 0, s36
	v_mul_lo_u32 v3, s5, v14
	v_mul_hi_u32 v3, v14, v3
	v_add_nc_u32_e32 v3, v14, v3
	v_mul_hi_u32 v3, v16, v3
	v_mul_lo_u32 v6, v3, s36
	v_add_nc_u32_e32 v7, 1, v3
	v_sub_nc_u32_e32 v6, v16, v6
	v_subrev_nc_u32_e32 v8, s36, v6
	v_cmp_le_u32_e32 vcc_lo, s36, v6
	v_cndmask_b32_e32 v6, v6, v8, vcc_lo
	v_cndmask_b32_e32 v3, v3, v7, vcc_lo
	v_cmp_le_u32_e32 vcc_lo, s36, v6
	v_add_nc_u32_e32 v7, 1, v3
	v_cndmask_b32_e32 v6, v3, v7, vcc_lo
	v_mov_b32_e32 v7, v2
.LBB19_7:                               ;   in Loop: Header=BB19_3 Depth=1
	s_or_b32 exec_lo, exec_lo, s0
	v_or_b32_e32 v3, s39, v7
                                        ; implicit-def: $vgpr8_vgpr9
	s_mov_b32 s0, exec_lo
	v_cmpx_ne_u64_e32 0, v[2:3]
	s_xor_b32 s5, exec_lo, s0
	s_cbranch_execz .LBB19_9
; %bb.8:                                ;   in Loop: Header=BB19_3 Depth=1
	s_ashr_i32 s46, s39, 31
	v_ashrrev_i32_e32 v13, 31, v7
	s_add_u32 s48, s38, s46
	s_mov_b32 s47, s46
	s_addc_u32 s49, s39, s46
	s_xor_b64 s[46:47], s[48:49], s[46:47]
	v_add_co_u32 v9, vcc_lo, v6, v13
	v_cvt_f32_u32_e32 v3, s46
	v_cvt_f32_u32_e32 v8, s47
	s_sub_u32 s49, 0, s46
	s_subb_u32 s56, 0, s47
	v_add_co_ci_u32_e64 v11, null, v7, v13, vcc_lo
	v_fmac_f32_e32 v3, 0x4f800000, v8
	v_xor_b32_e32 v19, v11, v13
	v_rcp_f32_e32 v3, v3
	v_mul_f32_e32 v3, 0x5f7ffffc, v3
	v_mul_f32_e32 v8, 0x2f800000, v3
	v_trunc_f32_e32 v8, v8
	v_fmac_f32_e32 v3, 0xcf800000, v8
	v_cvt_u32_f32_e32 v8, v8
	v_cvt_u32_f32_e32 v3, v3
	v_readfirstlane_b32 s0, v8
	v_readfirstlane_b32 s48, v3
	s_mul_i32 s57, s49, s0
	v_xor_b32_e32 v3, v9, v13
	s_mul_hi_u32 s59, s49, s48
	s_mul_i32 s58, s56, s48
	s_add_i32 s57, s59, s57
	s_mul_i32 s60, s49, s48
	s_add_i32 s57, s57, s58
	s_mul_hi_u32 s59, s48, s60
	s_mul_i32 s62, s48, s57
	s_mul_hi_u32 s61, s0, s60
	s_mul_i32 s58, s0, s60
	s_mul_hi_u32 s60, s48, s57
	s_add_u32 s59, s59, s62
	s_addc_u32 s60, 0, s60
	s_mul_hi_u32 s63, s0, s57
	s_add_u32 s58, s59, s58
	s_mul_i32 s57, s0, s57
	s_addc_u32 s58, s60, s61
	s_addc_u32 s59, s63, 0
	s_add_u32 s57, s58, s57
	s_addc_u32 s58, 0, s59
	s_add_u32 s48, s48, s57
	s_cselect_b32 s57, -1, 0
	s_mul_hi_u32 s59, s49, s48
	s_cmp_lg_u32 s57, 0
	s_mul_i32 s57, s49, s48
	s_addc_u32 s0, s0, s58
	s_mul_i32 s56, s56, s48
	s_mul_i32 s49, s49, s0
	s_mul_hi_u32 s58, s48, s57
	s_add_i32 s49, s59, s49
	s_mul_hi_u32 s59, s0, s57
	s_add_i32 s49, s49, s56
	s_mul_i32 s56, s0, s57
	s_mul_i32 s61, s48, s49
	s_mul_hi_u32 s60, s48, s49
	s_add_u32 s58, s58, s61
	s_addc_u32 s60, 0, s60
	s_mul_hi_u32 s57, s0, s49
	s_add_u32 s56, s58, s56
	s_mul_i32 s49, s0, s49
	s_addc_u32 s56, s60, s59
	s_addc_u32 s57, s57, 0
	s_add_u32 s49, s56, s49
	s_addc_u32 s56, 0, s57
	s_add_u32 s48, s48, s49
	s_cselect_b32 s49, -1, 0
	v_mul_hi_u32 v20, v3, s48
	s_cmp_lg_u32 s49, 0
	v_mad_u64_u32 v[11:12], null, v19, s48, 0
	s_addc_u32 s0, s0, s56
	v_mad_u64_u32 v[8:9], null, v3, s0, 0
	v_mad_u64_u32 v[17:18], null, v19, s0, 0
	v_add_co_u32 v8, vcc_lo, v20, v8
	v_add_co_ci_u32_e64 v9, null, 0, v9, vcc_lo
	v_add_co_u32 v8, vcc_lo, v8, v11
	v_add_co_ci_u32_e32 v8, vcc_lo, v9, v12, vcc_lo
	v_add_co_ci_u32_e32 v9, vcc_lo, 0, v18, vcc_lo
	v_add_co_u32 v8, vcc_lo, v8, v17
	v_add_co_ci_u32_e64 v11, null, 0, v9, vcc_lo
	v_mul_lo_u32 v12, s47, v8
	v_mad_u64_u32 v[8:9], null, s46, v8, 0
	v_mul_lo_u32 v11, s46, v11
	v_sub_co_u32 v3, vcc_lo, v3, v8
	v_add3_u32 v9, v9, v11, v12
	v_cmp_le_u32_e64 s0, s46, v3
	v_sub_nc_u32_e32 v11, v19, v9
	v_sub_co_ci_u32_e64 v9, null, v19, v9, vcc_lo
	v_cndmask_b32_e64 v17, 0, -1, s0
	v_subrev_co_ci_u32_e64 v8, null, s47, v11, vcc_lo
	v_sub_co_u32 v11, vcc_lo, v3, s46
	v_subrev_co_ci_u32_e64 v12, null, 0, v8, vcc_lo
	v_cmp_le_u32_e64 s0, s46, v11
	v_subrev_co_ci_u32_e64 v8, null, s47, v8, vcc_lo
	v_cmp_le_u32_e32 vcc_lo, s47, v9
	v_cndmask_b32_e64 v18, 0, -1, s0
	v_cmp_le_u32_e64 s0, s47, v12
	v_cndmask_b32_e64 v20, 0, -1, vcc_lo
	v_cmp_eq_u32_e32 vcc_lo, s47, v12
	v_cndmask_b32_e64 v19, 0, -1, s0
	v_cmp_eq_u32_e64 s0, s47, v9
	v_cndmask_b32_e32 v18, v19, v18, vcc_lo
	v_sub_co_u32 v19, vcc_lo, v11, s46
	v_subrev_co_ci_u32_e64 v8, null, 0, v8, vcc_lo
	v_cmp_ne_u32_e32 vcc_lo, 0, v18
	v_cndmask_b32_e64 v17, v20, v17, s0
	v_cndmask_b32_e32 v8, v12, v8, vcc_lo
	v_cndmask_b32_e32 v11, v11, v19, vcc_lo
	v_cmp_ne_u32_e32 vcc_lo, 0, v17
	v_cndmask_b32_e32 v3, v3, v11, vcc_lo
	v_cndmask_b32_e32 v8, v9, v8, vcc_lo
	v_xor_b32_e32 v3, v3, v13
	v_xor_b32_e32 v9, v8, v13
	v_sub_co_u32 v8, vcc_lo, v3, v13
	v_sub_co_ci_u32_e64 v9, null, v9, v13, vcc_lo
.LBB19_9:                               ;   in Loop: Header=BB19_3 Depth=1
	s_andn2_saveexec_b32 s0, s5
	s_cbranch_execz .LBB19_11
; %bb.10:                               ;   in Loop: Header=BB19_3 Depth=1
	v_cvt_f32_u32_e32 v3, s38
	s_sub_i32 s5, 0, s38
	v_mov_b32_e32 v9, v2
	v_rcp_iflag_f32_e32 v3, v3
	v_mul_f32_e32 v3, 0x4f7ffffe, v3
	v_cvt_u32_f32_e32 v3, v3
	v_mul_lo_u32 v8, s5, v3
	v_mul_hi_u32 v8, v3, v8
	v_add_nc_u32_e32 v3, v3, v8
	v_mul_hi_u32 v3, v6, v3
	v_mul_lo_u32 v3, v3, s38
	v_sub_nc_u32_e32 v3, v6, v3
	v_subrev_nc_u32_e32 v8, s38, v3
	v_cmp_le_u32_e32 vcc_lo, s38, v3
	v_cndmask_b32_e32 v3, v3, v8, vcc_lo
	v_subrev_nc_u32_e32 v8, s38, v3
	v_cmp_le_u32_e32 vcc_lo, s38, v3
	v_cndmask_b32_e32 v8, v3, v8, vcc_lo
.LBB19_11:                              ;   in Loop: Header=BB19_3 Depth=1
	s_or_b32 exec_lo, exec_lo, s0
	v_or_b32_e32 v3, s33, v15
                                        ; implicit-def: $vgpr12_vgpr13
	s_mov_b32 s0, exec_lo
	v_cmpx_ne_u64_e32 0, v[2:3]
	s_xor_b32 s5, exec_lo, s0
	s_cbranch_execz .LBB19_13
; %bb.12:                               ;   in Loop: Header=BB19_3 Depth=1
	s_ashr_i32 s46, s33, 31
	v_add_co_u32 v12, vcc_lo, v16, v10
	s_add_u32 s48, s1, s46
	s_mov_b32 s47, s46
	s_addc_u32 s49, s33, s46
	v_add_co_ci_u32_e64 v13, null, v15, v10, vcc_lo
	s_xor_b64 s[48:49], s[48:49], s[46:47]
	v_cvt_f32_u32_e32 v3, s48
	v_cvt_f32_u32_e32 v11, s49
	s_sub_u32 s56, 0, s48
	s_subb_u32 s57, 0, s49
	v_xor_b32_e32 v13, v13, v10
	v_fmac_f32_e32 v3, 0x4f800000, v11
	v_rcp_f32_e32 v3, v3
	v_mul_f32_e32 v3, 0x5f7ffffc, v3
	v_mul_f32_e32 v11, 0x2f800000, v3
	v_trunc_f32_e32 v11, v11
	v_fmac_f32_e32 v3, 0xcf800000, v11
	v_cvt_u32_f32_e32 v11, v11
	v_cvt_u32_f32_e32 v3, v3
	v_readfirstlane_b32 s0, v11
	v_readfirstlane_b32 s47, v3
	s_mul_i32 s58, s56, s0
	v_xor_b32_e32 v3, v12, v10
	v_xor_b32_e32 v10, s46, v10
	s_mul_hi_u32 s60, s56, s47
	s_mul_i32 s59, s57, s47
	s_add_i32 s58, s60, s58
	s_mul_i32 s61, s56, s47
	s_add_i32 s58, s58, s59
	s_mul_hi_u32 s60, s47, s61
	s_mul_i32 s63, s47, s58
	s_mul_hi_u32 s62, s0, s61
	s_mul_i32 s59, s0, s61
	s_mul_hi_u32 s61, s47, s58
	s_add_u32 s60, s60, s63
	s_addc_u32 s61, 0, s61
	s_mul_hi_u32 s64, s0, s58
	s_add_u32 s59, s60, s59
	s_mul_i32 s58, s0, s58
	s_addc_u32 s59, s61, s62
	s_addc_u32 s60, s64, 0
	s_add_u32 s58, s59, s58
	s_addc_u32 s59, 0, s60
	s_add_u32 s47, s47, s58
	s_cselect_b32 s58, -1, 0
	s_mul_hi_u32 s60, s56, s47
	s_cmp_lg_u32 s58, 0
	s_mul_i32 s58, s56, s47
	s_addc_u32 s0, s0, s59
	s_mul_i32 s57, s57, s47
	s_mul_i32 s56, s56, s0
	s_mul_hi_u32 s59, s47, s58
	s_add_i32 s56, s60, s56
	s_mul_hi_u32 s60, s0, s58
	s_add_i32 s56, s56, s57
	s_mul_i32 s57, s0, s58
	s_mul_i32 s62, s47, s56
	s_mul_hi_u32 s61, s47, s56
	s_add_u32 s59, s59, s62
	s_addc_u32 s61, 0, s61
	s_mul_hi_u32 s58, s0, s56
	s_add_u32 s57, s59, s57
	s_mul_i32 s56, s0, s56
	s_addc_u32 s57, s61, s60
	s_addc_u32 s58, s58, 0
	s_add_u32 s56, s57, s56
	s_addc_u32 s57, 0, s58
	s_add_u32 s47, s47, s56
	s_cselect_b32 s56, -1, 0
	v_mul_hi_u32 v21, v3, s47
	s_cmp_lg_u32 s56, 0
	v_mad_u64_u32 v[17:18], null, v13, s47, 0
	s_addc_u32 s0, s0, s57
	v_mad_u64_u32 v[11:12], null, v3, s0, 0
	v_mad_u64_u32 v[19:20], null, v13, s0, 0
	v_add_co_u32 v11, vcc_lo, v21, v11
	v_add_co_ci_u32_e64 v12, null, 0, v12, vcc_lo
	v_add_co_u32 v11, vcc_lo, v11, v17
	v_add_co_ci_u32_e32 v11, vcc_lo, v12, v18, vcc_lo
	v_add_co_ci_u32_e32 v12, vcc_lo, 0, v20, vcc_lo
	v_add_co_u32 v17, vcc_lo, v11, v19
	v_add_co_ci_u32_e64 v18, null, 0, v12, vcc_lo
	v_mul_lo_u32 v19, s49, v17
	v_mad_u64_u32 v[11:12], null, s48, v17, 0
	v_mul_lo_u32 v20, s48, v18
	v_sub_co_u32 v3, vcc_lo, v3, v11
	v_add3_u32 v12, v12, v20, v19
	v_sub_nc_u32_e32 v19, v13, v12
	v_sub_co_ci_u32_e64 v12, null, v13, v12, vcc_lo
	v_subrev_co_ci_u32_e64 v11, null, s49, v19, vcc_lo
	v_add_co_u32 v19, s0, v17, 2
	v_add_co_ci_u32_e64 v20, null, 0, v18, s0
	v_sub_co_u32 v21, s0, v3, s48
	v_subrev_co_ci_u32_e64 v11, null, 0, v11, s0
	v_cmp_le_u32_e32 vcc_lo, s48, v21
	v_cndmask_b32_e64 v13, 0, -1, vcc_lo
	v_cmp_le_u32_e32 vcc_lo, s49, v11
	v_cndmask_b32_e64 v21, 0, -1, vcc_lo
	;; [unrolled: 2-line block ×4, first 2 shown]
	v_cmp_eq_u32_e32 vcc_lo, s49, v11
	v_cndmask_b32_e32 v11, v21, v13, vcc_lo
	v_add_co_u32 v13, vcc_lo, v17, 1
	v_add_co_ci_u32_e64 v21, null, 0, v18, vcc_lo
	v_cmp_eq_u32_e32 vcc_lo, s49, v12
	v_cndmask_b32_e32 v3, v22, v3, vcc_lo
	v_cmp_ne_u32_e32 vcc_lo, 0, v11
	v_cmp_ne_u32_e64 s0, 0, v3
	v_cndmask_b32_e32 v3, v13, v19, vcc_lo
	v_cndmask_b32_e32 v11, v21, v20, vcc_lo
	v_cndmask_b32_e64 v3, v17, v3, s0
	v_cndmask_b32_e64 v11, v18, v11, s0
	v_xor_b32_e32 v3, v3, v10
	v_xor_b32_e32 v11, v11, v10
	v_sub_co_u32 v12, vcc_lo, v3, v10
	v_sub_co_ci_u32_e64 v13, null, v11, v10, vcc_lo
.LBB19_13:                              ;   in Loop: Header=BB19_3 Depth=1
	s_andn2_saveexec_b32 s0, s5
	s_cbranch_execz .LBB19_15
; %bb.14:                               ;   in Loop: Header=BB19_3 Depth=1
	v_cvt_f32_u32_e32 v3, s1
	s_sub_i32 s5, 0, s1
	v_mov_b32_e32 v13, v2
	v_rcp_iflag_f32_e32 v3, v3
	v_mul_f32_e32 v3, 0x4f7ffffe, v3
	v_cvt_u32_f32_e32 v3, v3
	v_mul_lo_u32 v10, s5, v3
	v_mul_hi_u32 v10, v3, v10
	v_add_nc_u32_e32 v3, v3, v10
	v_mul_hi_u32 v3, v5, v3
	v_mul_lo_u32 v10, v3, s1
	v_add_nc_u32_e32 v11, 1, v3
	v_sub_nc_u32_e32 v10, v5, v10
	v_subrev_nc_u32_e32 v12, s1, v10
	v_cmp_le_u32_e32 vcc_lo, s1, v10
	v_cndmask_b32_e32 v10, v10, v12, vcc_lo
	v_cndmask_b32_e32 v3, v3, v11, vcc_lo
	v_cmp_le_u32_e32 vcc_lo, s1, v10
	v_add_nc_u32_e32 v11, 1, v3
	v_cndmask_b32_e32 v12, v3, v11, vcc_lo
.LBB19_15:                              ;   in Loop: Header=BB19_3 Depth=1
	s_or_b32 exec_lo, exec_lo, s0
	v_or_b32_e32 v3, s35, v13
                                        ; implicit-def: $vgpr10_vgpr11
	s_mov_b32 s0, exec_lo
	v_cmpx_ne_u64_e32 0, v[2:3]
	s_xor_b32 s5, exec_lo, s0
	s_cbranch_execz .LBB19_17
; %bb.16:                               ;   in Loop: Header=BB19_3 Depth=1
	s_ashr_i32 s46, s35, 31
	v_ashrrev_i32_e32 v19, 31, v13
	s_add_u32 s48, s34, s46
	s_mov_b32 s47, s46
	s_addc_u32 s49, s35, s46
	s_xor_b64 s[46:47], s[48:49], s[46:47]
	v_add_co_u32 v11, vcc_lo, v12, v19
	v_cvt_f32_u32_e32 v3, s46
	v_cvt_f32_u32_e32 v10, s47
	s_sub_u32 s49, 0, s46
	s_subb_u32 s56, 0, s47
	v_add_co_ci_u32_e64 v12, null, v13, v19, vcc_lo
	v_fmac_f32_e32 v3, 0x4f800000, v10
	v_xor_b32_e32 v20, v12, v19
	v_rcp_f32_e32 v3, v3
	v_mul_f32_e32 v3, 0x5f7ffffc, v3
	v_mul_f32_e32 v10, 0x2f800000, v3
	v_trunc_f32_e32 v10, v10
	v_fmac_f32_e32 v3, 0xcf800000, v10
	v_cvt_u32_f32_e32 v10, v10
	v_cvt_u32_f32_e32 v3, v3
	v_readfirstlane_b32 s0, v10
	v_readfirstlane_b32 s48, v3
	s_mul_i32 s57, s49, s0
	v_xor_b32_e32 v3, v11, v19
	s_mul_hi_u32 s59, s49, s48
	s_mul_i32 s58, s56, s48
	s_add_i32 s57, s59, s57
	s_mul_i32 s60, s49, s48
	s_add_i32 s57, s57, s58
	s_mul_hi_u32 s59, s48, s60
	s_mul_i32 s62, s48, s57
	s_mul_hi_u32 s61, s0, s60
	s_mul_i32 s58, s0, s60
	s_mul_hi_u32 s60, s48, s57
	s_add_u32 s59, s59, s62
	s_addc_u32 s60, 0, s60
	s_mul_hi_u32 s63, s0, s57
	s_add_u32 s58, s59, s58
	s_mul_i32 s57, s0, s57
	s_addc_u32 s58, s60, s61
	s_addc_u32 s59, s63, 0
	s_add_u32 s57, s58, s57
	s_addc_u32 s58, 0, s59
	s_add_u32 s48, s48, s57
	s_cselect_b32 s57, -1, 0
	s_mul_hi_u32 s59, s49, s48
	s_cmp_lg_u32 s57, 0
	s_mul_i32 s57, s49, s48
	s_addc_u32 s0, s0, s58
	s_mul_i32 s56, s56, s48
	s_mul_i32 s49, s49, s0
	s_mul_hi_u32 s58, s48, s57
	s_add_i32 s49, s59, s49
	s_mul_hi_u32 s59, s0, s57
	s_add_i32 s49, s49, s56
	s_mul_i32 s56, s0, s57
	s_mul_i32 s61, s48, s49
	s_mul_hi_u32 s60, s48, s49
	s_add_u32 s58, s58, s61
	s_addc_u32 s60, 0, s60
	s_mul_hi_u32 s57, s0, s49
	s_add_u32 s56, s58, s56
	s_mul_i32 s49, s0, s49
	s_addc_u32 s56, s60, s59
	s_addc_u32 s57, s57, 0
	s_add_u32 s49, s56, s49
	s_addc_u32 s56, 0, s57
	s_add_u32 s48, s48, s49
	s_cselect_b32 s49, -1, 0
	v_mul_hi_u32 v21, v3, s48
	s_cmp_lg_u32 s49, 0
	v_mad_u64_u32 v[12:13], null, v20, s48, 0
	s_addc_u32 s0, s0, s56
	v_mad_u64_u32 v[10:11], null, v3, s0, 0
	v_mad_u64_u32 v[17:18], null, v20, s0, 0
	v_add_co_u32 v10, vcc_lo, v21, v10
	v_add_co_ci_u32_e64 v11, null, 0, v11, vcc_lo
	v_add_co_u32 v10, vcc_lo, v10, v12
	v_add_co_ci_u32_e32 v10, vcc_lo, v11, v13, vcc_lo
	v_add_co_ci_u32_e32 v11, vcc_lo, 0, v18, vcc_lo
	v_add_co_u32 v10, vcc_lo, v10, v17
	v_add_co_ci_u32_e64 v12, null, 0, v11, vcc_lo
	v_mul_lo_u32 v13, s47, v10
	v_mad_u64_u32 v[10:11], null, s46, v10, 0
	v_mul_lo_u32 v12, s46, v12
	v_sub_co_u32 v3, vcc_lo, v3, v10
	v_add3_u32 v11, v11, v12, v13
	v_cmp_le_u32_e64 s0, s46, v3
	v_sub_nc_u32_e32 v12, v20, v11
	v_sub_co_ci_u32_e64 v11, null, v20, v11, vcc_lo
	v_cndmask_b32_e64 v17, 0, -1, s0
	v_subrev_co_ci_u32_e64 v10, null, s47, v12, vcc_lo
	v_sub_co_u32 v12, vcc_lo, v3, s46
	v_subrev_co_ci_u32_e64 v13, null, 0, v10, vcc_lo
	v_cmp_le_u32_e64 s0, s46, v12
	v_subrev_co_ci_u32_e64 v10, null, s47, v10, vcc_lo
	v_cmp_le_u32_e32 vcc_lo, s47, v11
	v_cndmask_b32_e64 v18, 0, -1, s0
	v_cmp_le_u32_e64 s0, s47, v13
	v_cndmask_b32_e64 v21, 0, -1, vcc_lo
	v_cmp_eq_u32_e32 vcc_lo, s47, v13
	v_cndmask_b32_e64 v20, 0, -1, s0
	v_cmp_eq_u32_e64 s0, s47, v11
	v_cndmask_b32_e32 v18, v20, v18, vcc_lo
	v_sub_co_u32 v20, vcc_lo, v12, s46
	v_subrev_co_ci_u32_e64 v10, null, 0, v10, vcc_lo
	v_cmp_ne_u32_e32 vcc_lo, 0, v18
	v_cndmask_b32_e64 v17, v21, v17, s0
	v_cndmask_b32_e32 v10, v13, v10, vcc_lo
	v_cndmask_b32_e32 v12, v12, v20, vcc_lo
	v_cmp_ne_u32_e32 vcc_lo, 0, v17
	v_cndmask_b32_e32 v3, v3, v12, vcc_lo
	v_cndmask_b32_e32 v10, v11, v10, vcc_lo
                                        ; implicit-def: $vgpr12_vgpr13
	v_xor_b32_e32 v3, v3, v19
	v_xor_b32_e32 v11, v10, v19
	v_sub_co_u32 v10, vcc_lo, v3, v19
	v_sub_co_ci_u32_e64 v11, null, v11, v19, vcc_lo
.LBB19_17:                              ;   in Loop: Header=BB19_3 Depth=1
	s_andn2_saveexec_b32 s0, s5
	s_cbranch_execz .LBB19_19
; %bb.18:                               ;   in Loop: Header=BB19_3 Depth=1
	v_cvt_f32_u32_e32 v3, s34
	s_sub_i32 s5, 0, s34
	v_mov_b32_e32 v11, v2
	v_rcp_iflag_f32_e32 v3, v3
	v_mul_f32_e32 v3, 0x4f7ffffe, v3
	v_cvt_u32_f32_e32 v3, v3
	v_mul_lo_u32 v10, s5, v3
	v_mul_hi_u32 v10, v3, v10
	v_add_nc_u32_e32 v3, v3, v10
	v_mul_hi_u32 v3, v12, v3
	v_mul_lo_u32 v3, v3, s34
	v_sub_nc_u32_e32 v3, v12, v3
	v_subrev_nc_u32_e32 v10, s34, v3
	v_cmp_le_u32_e32 vcc_lo, s34, v3
	v_cndmask_b32_e32 v3, v3, v10, vcc_lo
	v_subrev_nc_u32_e32 v10, s34, v3
	v_cmp_le_u32_e32 vcc_lo, s34, v3
	v_cndmask_b32_e32 v10, v3, v10, vcc_lo
.LBB19_19:                              ;   in Loop: Header=BB19_3 Depth=1
	s_or_b32 exec_lo, exec_lo, s0
	v_mul_lo_u32 v3, v7, s36
	v_mul_lo_u32 v12, v6, s37
	v_mad_u64_u32 v[6:7], null, v6, s36, 0
	v_mul_lo_u32 v19, s11, v8
	v_mul_lo_u32 v20, s10, v9
	;; [unrolled: 1-line block ×4, first 2 shown]
	s_mov_b32 s5, -1
	s_mov_b32 s0, -1
	v_add3_u32 v7, v7, v12, v3
	v_sub_co_u32 v3, vcc_lo, v16, v6
	s_mov_b32 s46, exec_lo
	v_sub_co_ci_u32_e64 v12, null, v15, v7, vcc_lo
	v_mul_lo_u32 v13, s9, v3
	v_mad_u64_u32 v[6:7], null, s8, v3, 0
	v_mul_lo_u32 v17, s8, v12
	v_mad_u64_u32 v[15:16], null, s10, v8, 0
	v_add3_u32 v7, v7, v17, v13
	v_mad_u64_u32 v[17:18], null, s12, v10, 0
	v_add3_u32 v16, v16, v20, v19
	v_lshlrev_b64 v[6:7], 3, v[6:7]
	v_lshlrev_b64 v[15:16], 3, v[15:16]
	v_add3_u32 v18, v18, v22, v21
	v_add_co_u32 v13, vcc_lo, s6, v6
	v_add_co_ci_u32_e64 v19, null, s7, v7, vcc_lo
	v_lshlrev_b64 v[6:7], 3, v[17:18]
	v_add_co_u32 v13, vcc_lo, v13, v15
	v_add_co_ci_u32_e64 v15, null, v19, v16, vcc_lo
	v_add_co_u32 v6, vcc_lo, v13, v6
	v_add_co_ci_u32_e64 v7, null, v15, v7, vcc_lo
	global_load_dwordx2 v[6:7], v[6:7], off
	s_waitcnt vmcnt(0)
	v_cmpx_ne_u64_e64 s[42:43], v[6:7]
	s_cbranch_execz .LBB19_26
; %bb.20:                               ;   in Loop: Header=BB19_3 Depth=1
	v_cmp_lt_i64_e32 vcc_lo, -1, v[6:7]
	v_cmp_gt_i64_e64 s0, s[44:45], v[6:7]
	s_mov_b32 s47, 0
	s_and_b32 s48, vcc_lo, s0
	s_and_saveexec_b32 s0, s48
	s_cbranch_execz .LBB19_25
; %bb.21:                               ;   in Loop: Header=BB19_3 Depth=1
	s_andn2_b32 vcc_lo, exec_lo, s51
	s_cbranch_vccnz .LBB19_23
; %bb.22:                               ;   in Loop: Header=BB19_3 Depth=1
	v_lshlrev_b64 v[15:16], 1, v[6:7]
	v_add_co_u32 v15, vcc_lo, s40, v15
	v_add_co_ci_u32_e64 v16, null, s41, v16, vcc_lo
	global_load_ushort v13, v[15:16], off
	s_waitcnt vmcnt(0)
	v_lshlrev_b32_e32 v13, 16, v13
	s_branch .LBB19_24
.LBB19_23:                              ;   in Loop: Header=BB19_3 Depth=1
	v_mov_b32_e32 v13, 1.0
.LBB19_24:                              ;   in Loop: Header=BB19_3 Depth=1
	v_mul_lo_u32 v17, s17, v3
	v_mul_lo_u32 v18, s16, v12
	v_mad_u64_u32 v[15:16], null, s16, v3, 0
	v_mul_lo_u32 v21, s19, v8
	v_mul_lo_u32 v22, s18, v9
	;; [unrolled: 1-line block ×4, first 2 shown]
	v_mad_u64_u32 v[19:20], null, s20, v10, 0
	v_add3_u32 v16, v16, v18, v17
	v_mad_u64_u32 v[17:18], null, s18, v8, 0
	v_mul_lo_u32 v12, s24, v12
	s_mov_b32 s47, exec_lo
	v_lshlrev_b64 v[15:16], 1, v[15:16]
	v_add3_u32 v20, v20, v24, v23
	v_mul_lo_u32 v23, s28, v9
	v_mul_lo_u32 v24, s30, v11
	v_add3_u32 v18, v18, v22, v21
	v_add_co_u32 v21, vcc_lo, s14, v15
	v_add_co_ci_u32_e64 v22, null, s15, v16, vcc_lo
	v_lshlrev_b64 v[17:18], 1, v[17:18]
	v_lshlrev_b64 v[15:16], 1, v[19:20]
	v_mul_lo_u32 v19, s25, v3
	v_mul_lo_u32 v20, s26, v7
	v_add_co_u32 v17, vcc_lo, v21, v17
	v_add_co_ci_u32_e64 v18, null, v22, v18, vcc_lo
	v_mul_lo_u32 v22, s29, v8
	v_add_co_u32 v15, vcc_lo, v17, v15
	v_add_co_ci_u32_e64 v16, null, v18, v16, vcc_lo
	v_xor_b32_e32 v18, 0x80000000, v13
	v_cmp_o_f32_e32 vcc_lo, v13, v13
	v_mad_u64_u32 v[8:9], null, s28, v8, 0
	global_load_ushort v17, v[15:16], off
	v_bfe_u32 v21, v18, 16, 1
	v_mad_u64_u32 v[15:16], null, s24, v3, 0
	v_mul_lo_u32 v3, s27, v6
	v_mad_u64_u32 v[6:7], null, s26, v6, 0
	v_add3_u32 v18, v18, v21, 0x7fff
	v_mul_lo_u32 v21, s31, v10
	v_mad_u64_u32 v[10:11], null, s30, v10, 0
	v_add3_u32 v16, v16, v12, v19
	v_and_b32_e32 v18, 0xffff0000, v18
	v_add3_u32 v7, v7, v20, v3
	v_add3_u32 v9, v9, v23, v22
	v_cndmask_b32_e32 v13, 0x7fc00000, v18, vcc_lo
	v_lshlrev_b64 v[6:7], 1, v[6:7]
	v_lshlrev_b64 v[8:9], 1, v[8:9]
	v_add3_u32 v11, v11, v24, v21
	v_lshlrev_b64 v[10:11], 1, v[10:11]
	s_waitcnt vmcnt(0)
	v_lshlrev_b32_e32 v17, 16, v17
	v_mul_f32_e32 v3, v13, v17
	v_lshlrev_b64 v[12:13], 1, v[15:16]
	v_bfe_u32 v15, v3, 16, 1
	v_add_co_u32 v12, vcc_lo, s22, v12
	v_add_co_ci_u32_e64 v13, null, s23, v13, vcc_lo
	v_add3_u32 v15, v3, v15, 0x7fff
	v_add_co_u32 v6, vcc_lo, v12, v6
	v_add_co_ci_u32_e64 v7, null, v13, v7, vcc_lo
	v_lshrrev_b32_e32 v12, 16, v15
	v_add_co_u32 v6, vcc_lo, v6, v8
	v_add_co_ci_u32_e64 v7, null, v7, v9, vcc_lo
	v_cmp_o_f32_e32 vcc_lo, v3, v3
	v_cndmask_b32_e32 v3, 0x7fc0, v12, vcc_lo
	v_add_co_u32 v6, vcc_lo, v6, v10
	v_add_co_ci_u32_e64 v7, null, v7, v11, vcc_lo
	global_store_short v[6:7], v3, off
.LBB19_25:                              ;   in Loop: Header=BB19_3 Depth=1
	s_or_b32 exec_lo, exec_lo, s0
	s_orn2_b32 s0, s47, exec_lo
.LBB19_26:                              ;   in Loop: Header=BB19_3 Depth=1
	s_or_b32 exec_lo, exec_lo, s46
	s_or_b32 s55, s55, exec_lo
	s_and_saveexec_b32 s46, s0
	s_cbranch_execz .LBB19_2
; %bb.27:                               ;   in Loop: Header=BB19_3 Depth=1
	v_add_co_u32 v0, vcc_lo, v0, s50
	v_add_co_ci_u32_e64 v1, null, 0, v1, vcc_lo
	v_add_co_u32 v4, s0, v4, 0
	v_add_co_ci_u32_e64 v5, null, s53, v5, s0
	v_cmp_le_i64_e32 vcc_lo, s[2:3], v[0:1]
	s_andn2_b32 s55, s55, exec_lo
	s_orn2_b32 s5, vcc_lo, exec_lo
	s_branch .LBB19_2
.LBB19_28:
	s_or_b32 exec_lo, exec_lo, s52
	s_and_saveexec_b32 s0, s54
	s_xor_b32 s0, exec_lo, s0
	s_cbranch_execnz .LBB19_30
.LBB19_29:
	s_endpgm
.LBB19_30:
	s_trap 2
	; divergent unreachable
	s_endpgm
	.section	.rodata,"a",@progbits
	.p2align	6, 0x0
	.amdhsa_kernel _ZN2at6native12_GLOBAL__N_136nll_loss2d_backward_no_reduce_kernelIN3c108BFloat16EEEvlN5torch10headeronly6detail27GenericPackedTensorAccessorINS7_14TensorAccessorINS3_8ArrayRefIlEElLm2ENS6_16DefaultPtrTraitsElEENS_6detail16IndexBoundsCheckILm3ElEElLm3ESC_lEENS8_INS9_ISB_T_Lm2ESC_lEESG_SI_Lm3ESC_lEENS8_INS9_ISB_SI_Lm3ESC_lEENSF_ILm4ElEESI_Lm4ESC_lEEPKSI_l
		.amdhsa_group_segment_fixed_size 0
		.amdhsa_private_segment_fixed_size 0
		.amdhsa_kernarg_size 464
		.amdhsa_user_sgpr_count 6
		.amdhsa_user_sgpr_private_segment_buffer 1
		.amdhsa_user_sgpr_dispatch_ptr 0
		.amdhsa_user_sgpr_queue_ptr 0
		.amdhsa_user_sgpr_kernarg_segment_ptr 1
		.amdhsa_user_sgpr_dispatch_id 0
		.amdhsa_user_sgpr_flat_scratch_init 0
		.amdhsa_user_sgpr_private_segment_size 0
		.amdhsa_wavefront_size32 1
		.amdhsa_uses_dynamic_stack 0
		.amdhsa_system_sgpr_private_segment_wavefront_offset 0
		.amdhsa_system_sgpr_workgroup_id_x 1
		.amdhsa_system_sgpr_workgroup_id_y 0
		.amdhsa_system_sgpr_workgroup_id_z 0
		.amdhsa_system_sgpr_workgroup_info 0
		.amdhsa_system_vgpr_workitem_id 0
		.amdhsa_next_free_vgpr 25
		.amdhsa_next_free_sgpr 65
		.amdhsa_reserve_vcc 1
		.amdhsa_reserve_flat_scratch 0
		.amdhsa_float_round_mode_32 0
		.amdhsa_float_round_mode_16_64 0
		.amdhsa_float_denorm_mode_32 3
		.amdhsa_float_denorm_mode_16_64 3
		.amdhsa_dx10_clamp 1
		.amdhsa_ieee_mode 1
		.amdhsa_fp16_overflow 0
		.amdhsa_workgroup_processor_mode 1
		.amdhsa_memory_ordered 1
		.amdhsa_forward_progress 1
		.amdhsa_shared_vgpr_count 0
		.amdhsa_exception_fp_ieee_invalid_op 0
		.amdhsa_exception_fp_denorm_src 0
		.amdhsa_exception_fp_ieee_div_zero 0
		.amdhsa_exception_fp_ieee_overflow 0
		.amdhsa_exception_fp_ieee_underflow 0
		.amdhsa_exception_fp_ieee_inexact 0
		.amdhsa_exception_int_div_zero 0
	.end_amdhsa_kernel
	.section	.text._ZN2at6native12_GLOBAL__N_136nll_loss2d_backward_no_reduce_kernelIN3c108BFloat16EEEvlN5torch10headeronly6detail27GenericPackedTensorAccessorINS7_14TensorAccessorINS3_8ArrayRefIlEElLm2ENS6_16DefaultPtrTraitsElEENS_6detail16IndexBoundsCheckILm3ElEElLm3ESC_lEENS8_INS9_ISB_T_Lm2ESC_lEESG_SI_Lm3ESC_lEENS8_INS9_ISB_SI_Lm3ESC_lEENSF_ILm4ElEESI_Lm4ESC_lEEPKSI_l,"axG",@progbits,_ZN2at6native12_GLOBAL__N_136nll_loss2d_backward_no_reduce_kernelIN3c108BFloat16EEEvlN5torch10headeronly6detail27GenericPackedTensorAccessorINS7_14TensorAccessorINS3_8ArrayRefIlEElLm2ENS6_16DefaultPtrTraitsElEENS_6detail16IndexBoundsCheckILm3ElEElLm3ESC_lEENS8_INS9_ISB_T_Lm2ESC_lEESG_SI_Lm3ESC_lEENS8_INS9_ISB_SI_Lm3ESC_lEENSF_ILm4ElEESI_Lm4ESC_lEEPKSI_l,comdat
.Lfunc_end19:
	.size	_ZN2at6native12_GLOBAL__N_136nll_loss2d_backward_no_reduce_kernelIN3c108BFloat16EEEvlN5torch10headeronly6detail27GenericPackedTensorAccessorINS7_14TensorAccessorINS3_8ArrayRefIlEElLm2ENS6_16DefaultPtrTraitsElEENS_6detail16IndexBoundsCheckILm3ElEElLm3ESC_lEENS8_INS9_ISB_T_Lm2ESC_lEESG_SI_Lm3ESC_lEENS8_INS9_ISB_SI_Lm3ESC_lEENSF_ILm4ElEESI_Lm4ESC_lEEPKSI_l, .Lfunc_end19-_ZN2at6native12_GLOBAL__N_136nll_loss2d_backward_no_reduce_kernelIN3c108BFloat16EEEvlN5torch10headeronly6detail27GenericPackedTensorAccessorINS7_14TensorAccessorINS3_8ArrayRefIlEElLm2ENS6_16DefaultPtrTraitsElEENS_6detail16IndexBoundsCheckILm3ElEElLm3ESC_lEENS8_INS9_ISB_T_Lm2ESC_lEESG_SI_Lm3ESC_lEENS8_INS9_ISB_SI_Lm3ESC_lEENSF_ILm4ElEESI_Lm4ESC_lEEPKSI_l
                                        ; -- End function
	.set _ZN2at6native12_GLOBAL__N_136nll_loss2d_backward_no_reduce_kernelIN3c108BFloat16EEEvlN5torch10headeronly6detail27GenericPackedTensorAccessorINS7_14TensorAccessorINS3_8ArrayRefIlEElLm2ENS6_16DefaultPtrTraitsElEENS_6detail16IndexBoundsCheckILm3ElEElLm3ESC_lEENS8_INS9_ISB_T_Lm2ESC_lEESG_SI_Lm3ESC_lEENS8_INS9_ISB_SI_Lm3ESC_lEENSF_ILm4ElEESI_Lm4ESC_lEEPKSI_l.num_vgpr, 25
	.set _ZN2at6native12_GLOBAL__N_136nll_loss2d_backward_no_reduce_kernelIN3c108BFloat16EEEvlN5torch10headeronly6detail27GenericPackedTensorAccessorINS7_14TensorAccessorINS3_8ArrayRefIlEElLm2ENS6_16DefaultPtrTraitsElEENS_6detail16IndexBoundsCheckILm3ElEElLm3ESC_lEENS8_INS9_ISB_T_Lm2ESC_lEESG_SI_Lm3ESC_lEENS8_INS9_ISB_SI_Lm3ESC_lEENSF_ILm4ElEESI_Lm4ESC_lEEPKSI_l.num_agpr, 0
	.set _ZN2at6native12_GLOBAL__N_136nll_loss2d_backward_no_reduce_kernelIN3c108BFloat16EEEvlN5torch10headeronly6detail27GenericPackedTensorAccessorINS7_14TensorAccessorINS3_8ArrayRefIlEElLm2ENS6_16DefaultPtrTraitsElEENS_6detail16IndexBoundsCheckILm3ElEElLm3ESC_lEENS8_INS9_ISB_T_Lm2ESC_lEESG_SI_Lm3ESC_lEENS8_INS9_ISB_SI_Lm3ESC_lEENSF_ILm4ElEESI_Lm4ESC_lEEPKSI_l.numbered_sgpr, 65
	.set _ZN2at6native12_GLOBAL__N_136nll_loss2d_backward_no_reduce_kernelIN3c108BFloat16EEEvlN5torch10headeronly6detail27GenericPackedTensorAccessorINS7_14TensorAccessorINS3_8ArrayRefIlEElLm2ENS6_16DefaultPtrTraitsElEENS_6detail16IndexBoundsCheckILm3ElEElLm3ESC_lEENS8_INS9_ISB_T_Lm2ESC_lEESG_SI_Lm3ESC_lEENS8_INS9_ISB_SI_Lm3ESC_lEENSF_ILm4ElEESI_Lm4ESC_lEEPKSI_l.num_named_barrier, 0
	.set _ZN2at6native12_GLOBAL__N_136nll_loss2d_backward_no_reduce_kernelIN3c108BFloat16EEEvlN5torch10headeronly6detail27GenericPackedTensorAccessorINS7_14TensorAccessorINS3_8ArrayRefIlEElLm2ENS6_16DefaultPtrTraitsElEENS_6detail16IndexBoundsCheckILm3ElEElLm3ESC_lEENS8_INS9_ISB_T_Lm2ESC_lEESG_SI_Lm3ESC_lEENS8_INS9_ISB_SI_Lm3ESC_lEENSF_ILm4ElEESI_Lm4ESC_lEEPKSI_l.private_seg_size, 0
	.set _ZN2at6native12_GLOBAL__N_136nll_loss2d_backward_no_reduce_kernelIN3c108BFloat16EEEvlN5torch10headeronly6detail27GenericPackedTensorAccessorINS7_14TensorAccessorINS3_8ArrayRefIlEElLm2ENS6_16DefaultPtrTraitsElEENS_6detail16IndexBoundsCheckILm3ElEElLm3ESC_lEENS8_INS9_ISB_T_Lm2ESC_lEESG_SI_Lm3ESC_lEENS8_INS9_ISB_SI_Lm3ESC_lEENSF_ILm4ElEESI_Lm4ESC_lEEPKSI_l.uses_vcc, 1
	.set _ZN2at6native12_GLOBAL__N_136nll_loss2d_backward_no_reduce_kernelIN3c108BFloat16EEEvlN5torch10headeronly6detail27GenericPackedTensorAccessorINS7_14TensorAccessorINS3_8ArrayRefIlEElLm2ENS6_16DefaultPtrTraitsElEENS_6detail16IndexBoundsCheckILm3ElEElLm3ESC_lEENS8_INS9_ISB_T_Lm2ESC_lEESG_SI_Lm3ESC_lEENS8_INS9_ISB_SI_Lm3ESC_lEENSF_ILm4ElEESI_Lm4ESC_lEEPKSI_l.uses_flat_scratch, 0
	.set _ZN2at6native12_GLOBAL__N_136nll_loss2d_backward_no_reduce_kernelIN3c108BFloat16EEEvlN5torch10headeronly6detail27GenericPackedTensorAccessorINS7_14TensorAccessorINS3_8ArrayRefIlEElLm2ENS6_16DefaultPtrTraitsElEENS_6detail16IndexBoundsCheckILm3ElEElLm3ESC_lEENS8_INS9_ISB_T_Lm2ESC_lEESG_SI_Lm3ESC_lEENS8_INS9_ISB_SI_Lm3ESC_lEENSF_ILm4ElEESI_Lm4ESC_lEEPKSI_l.has_dyn_sized_stack, 0
	.set _ZN2at6native12_GLOBAL__N_136nll_loss2d_backward_no_reduce_kernelIN3c108BFloat16EEEvlN5torch10headeronly6detail27GenericPackedTensorAccessorINS7_14TensorAccessorINS3_8ArrayRefIlEElLm2ENS6_16DefaultPtrTraitsElEENS_6detail16IndexBoundsCheckILm3ElEElLm3ESC_lEENS8_INS9_ISB_T_Lm2ESC_lEESG_SI_Lm3ESC_lEENS8_INS9_ISB_SI_Lm3ESC_lEENSF_ILm4ElEESI_Lm4ESC_lEEPKSI_l.has_recursion, 0
	.set _ZN2at6native12_GLOBAL__N_136nll_loss2d_backward_no_reduce_kernelIN3c108BFloat16EEEvlN5torch10headeronly6detail27GenericPackedTensorAccessorINS7_14TensorAccessorINS3_8ArrayRefIlEElLm2ENS6_16DefaultPtrTraitsElEENS_6detail16IndexBoundsCheckILm3ElEElLm3ESC_lEENS8_INS9_ISB_T_Lm2ESC_lEESG_SI_Lm3ESC_lEENS8_INS9_ISB_SI_Lm3ESC_lEENSF_ILm4ElEESI_Lm4ESC_lEEPKSI_l.has_indirect_call, 0
	.section	.AMDGPU.csdata,"",@progbits
; Kernel info:
; codeLenInByte = 4216
; TotalNumSgprs: 67
; NumVgprs: 25
; ScratchSize: 0
; MemoryBound: 0
; FloatMode: 240
; IeeeMode: 1
; LDSByteSize: 0 bytes/workgroup (compile time only)
; SGPRBlocks: 0
; VGPRBlocks: 3
; NumSGPRsForWavesPerEU: 67
; NumVGPRsForWavesPerEU: 25
; Occupancy: 16
; WaveLimiterHint : 1
; COMPUTE_PGM_RSRC2:SCRATCH_EN: 0
; COMPUTE_PGM_RSRC2:USER_SGPR: 6
; COMPUTE_PGM_RSRC2:TRAP_HANDLER: 0
; COMPUTE_PGM_RSRC2:TGID_X_EN: 1
; COMPUTE_PGM_RSRC2:TGID_Y_EN: 0
; COMPUTE_PGM_RSRC2:TGID_Z_EN: 0
; COMPUTE_PGM_RSRC2:TIDIG_COMP_CNT: 0
	.section	.text._ZN2at6native12_GLOBAL__N_126nll_loss2d_backward_kernelIdEEvPT_PKS3_PKlS6_S6_biiil,"axG",@progbits,_ZN2at6native12_GLOBAL__N_126nll_loss2d_backward_kernelIdEEvPT_PKS3_PKlS6_S6_biiil,comdat
	.globl	_ZN2at6native12_GLOBAL__N_126nll_loss2d_backward_kernelIdEEvPT_PKS3_PKlS6_S6_biiil ; -- Begin function _ZN2at6native12_GLOBAL__N_126nll_loss2d_backward_kernelIdEEvPT_PKS3_PKlS6_S6_biiil
	.p2align	8
	.type	_ZN2at6native12_GLOBAL__N_126nll_loss2d_backward_kernelIdEEvPT_PKS3_PKlS6_S6_biiil,@function
_ZN2at6native12_GLOBAL__N_126nll_loss2d_backward_kernelIdEEvPT_PKS3_PKlS6_S6_biiil: ; @_ZN2at6native12_GLOBAL__N_126nll_loss2d_backward_kernelIdEEvPT_PKS3_PKlS6_S6_biiil
; %bb.0:
	s_load_dwordx8 s[8:15], s[4:5], 0x0
	s_waitcnt lgkmcnt(0)
	s_load_dwordx2 s[10:11], s[10:11], 0x0
	s_clause 0x1
	s_load_dwordx4 s[0:3], s[4:5], 0x28
	s_load_dwordx2 s[16:17], s[4:5], 0x20
	s_waitcnt lgkmcnt(0)
	v_mov_b32_e32 v1, s10
	v_mov_b32_e32 v2, s11
	s_bitcmp0_b32 s0, 0
	s_cbranch_scc1 .LBB20_2
; %bb.1:
	s_load_dwordx2 s[16:17], s[16:17], 0x0
	s_waitcnt lgkmcnt(0)
	v_div_scale_f64 v[1:2], null, s[16:17], s[16:17], s[10:11]
	v_rcp_f64_e32 v[3:4], v[1:2]
	v_fma_f64 v[5:6], -v[1:2], v[3:4], 1.0
	v_fma_f64 v[3:4], v[3:4], v[5:6], v[3:4]
	v_fma_f64 v[5:6], -v[1:2], v[3:4], 1.0
	v_fma_f64 v[3:4], v[3:4], v[5:6], v[3:4]
	v_div_scale_f64 v[5:6], vcc_lo, s[10:11], s[16:17], s[10:11]
	v_mul_f64 v[7:8], v[5:6], v[3:4]
	v_fma_f64 v[1:2], -v[1:2], v[7:8], v[5:6]
	v_div_fmas_f64 v[1:2], v[1:2], v[3:4], v[7:8]
	v_div_fixup_f64 v[1:2], v[1:2], s[16:17], s[10:11]
.LBB20_2:
	v_cvt_f32_u32_e32 v3, s3
	s_sub_i32 s7, 0, s3
	s_load_dword s10, s[4:5], 0x4c
	v_rcp_iflag_f32_e32 v3, v3
	v_mul_f32_e32 v3, 0x4f7ffffe, v3
	v_cvt_u32_f32_e32 v3, v3
	v_readfirstlane_b32 s0, v3
	s_mul_i32 s7, s7, s0
	s_mul_hi_u32 s7, s0, s7
	s_add_i32 s0, s0, s7
	s_mul_hi_u32 s0, s6, s0
	s_mul_i32 s7, s0, s3
	s_add_i32 s11, s0, 1
	s_sub_i32 s7, s6, s7
	s_sub_i32 s16, s7, s3
	s_cmp_ge_u32 s7, s3
	s_cselect_b32 s0, s11, s0
	s_cselect_b32 s7, s16, s7
	s_add_i32 s11, s0, 1
	s_cmp_ge_u32 s7, s3
	s_cselect_b32 s7, s11, s0
	s_waitcnt lgkmcnt(0)
	s_and_b32 s0, s10, 0xffff
	s_mul_i32 s11, s7, s3
	s_sub_i32 s6, s6, s11
	v_mad_u64_u32 v[3:4], null, s6, s0, v[0:1]
	s_mov_b32 s6, exec_lo
	v_cmpx_gt_i32_e64 s2, v3
	s_cbranch_execz .LBB20_19
; %bb.3:
	s_mul_i32 s10, s7, s2
	s_load_dwordx2 s[4:5], s[4:5], 0x38
	s_mul_i32 s6, s10, s1
	v_ashrrev_i32_e32 v4, 31, v3
	s_ashr_i32 s7, s6, 31
	s_ashr_i32 s11, s10, 31
	s_lshl_b64 s[6:7], s[6:7], 3
	v_xor_b32_e32 v6, 0x80000000, v2
	s_add_u32 s16, s8, s6
	s_addc_u32 s17, s9, s7
	s_ashr_i32 s7, s1, 31
	s_ashr_i32 s18, s2, 31
	s_cmp_lg_u64 s[14:15], 0
	v_lshlrev_b64 v[7:8], 3, v[3:4]
	s_cselect_b32 s19, -1, 0
	s_lshl_b64 s[10:11], s[10:11], 3
	s_mul_i32 s8, s3, s0
	s_add_u32 s0, s12, s10
	s_addc_u32 s3, s13, s11
	v_add_co_u32 v7, vcc_lo, s0, v7
	v_mov_b32_e32 v5, v1
	v_add_co_ci_u32_e64 v8, null, s3, v8, vcc_lo
	s_ashr_i32 s9, s8, 31
	s_mov_b32 s6, s1
	s_lshl_b64 s[10:11], s[8:9], 3
	s_mov_b32 s3, 0
                                        ; implicit-def: $sgpr12
                                        ; implicit-def: $sgpr1
                                        ; implicit-def: $sgpr13
                                        ; implicit-def: $sgpr20
	s_branch .LBB20_5
.LBB20_4:                               ;   in Loop: Header=BB20_5 Depth=1
	s_or_b32 exec_lo, exec_lo, s22
	s_and_b32 s0, exec_lo, s21
	s_or_b32 s3, s0, s3
	s_andn2_b32 s0, s1, exec_lo
	s_and_b32 s1, s20, exec_lo
	s_andn2_b32 s12, s12, exec_lo
	s_and_b32 s21, s13, exec_lo
	s_or_b32 s1, s0, s1
	s_or_b32 s12, s12, s21
	s_andn2_b32 exec_lo, exec_lo, s3
	s_cbranch_execz .LBB20_15
.LBB20_5:                               ; =>This Inner Loop Header: Depth=1
	global_load_dwordx2 v[9:10], v[7:8], off
	s_mov_b32 s21, -1
	s_mov_b32 s0, -1
	s_mov_b32 s22, exec_lo
                                        ; implicit-def: $sgpr23
                                        ; implicit-def: $sgpr24
	s_waitcnt vmcnt(0) lgkmcnt(0)
	v_cmpx_ne_u64_e64 s[4:5], v[9:10]
	s_cbranch_execz .LBB20_13
; %bb.6:                                ;   in Loop: Header=BB20_5 Depth=1
	v_cmp_lt_i64_e32 vcc_lo, -1, v[9:10]
	v_cmp_gt_i64_e64 s0, s[6:7], v[9:10]
	s_mov_b32 s23, -1
	s_mov_b32 s25, 0
	s_mov_b32 s24, 0
	s_and_b32 s26, vcc_lo, s0
	s_and_saveexec_b32 s0, s26
	s_cbranch_execz .LBB20_12
; %bb.7:                                ;   in Loop: Header=BB20_5 Depth=1
	v_mad_u64_u32 v[11:12], null, v9, s2, v[3:4]
	v_mul_lo_u32 v0, v9, s18
	v_mul_lo_u32 v13, v10, s2
	s_mov_b32 s23, exec_lo
	v_add3_u32 v12, v13, v12, v0
	v_cmpx_lt_i64_e32 -1, v[11:12]
	s_cbranch_execz .LBB20_11
; %bb.8:                                ;   in Loop: Header=BB20_5 Depth=1
	v_mov_b32_e32 v14, v6
	v_mov_b32_e32 v13, v5
	s_andn2_b32 vcc_lo, exec_lo, s19
	s_cbranch_vccnz .LBB20_10
; %bb.9:                                ;   in Loop: Header=BB20_5 Depth=1
	v_lshlrev_b64 v[9:10], 3, v[9:10]
	v_add_co_u32 v9, vcc_lo, s14, v9
	v_add_co_ci_u32_e64 v10, null, s15, v10, vcc_lo
	global_load_dwordx2 v[9:10], v[9:10], off
	s_waitcnt vmcnt(0)
	v_mul_f64 v[13:14], v[9:10], -v[1:2]
.LBB20_10:                              ;   in Loop: Header=BB20_5 Depth=1
	v_lshlrev_b64 v[9:10], 3, v[11:12]
	s_mov_b32 s25, exec_lo
	v_add_co_u32 v9, vcc_lo, s16, v9
	v_add_co_ci_u32_e64 v10, null, s17, v10, vcc_lo
	global_store_dwordx2 v[9:10], v[13:14], off
.LBB20_11:                              ;   in Loop: Header=BB20_5 Depth=1
	s_or_b32 exec_lo, exec_lo, s23
	s_mov_b32 s24, exec_lo
	s_xor_b32 s23, exec_lo, -1
	s_and_b32 s25, s25, exec_lo
.LBB20_12:                              ;   in Loop: Header=BB20_5 Depth=1
	s_or_b32 exec_lo, exec_lo, s0
	s_orn2_b32 s0, s25, exec_lo
.LBB20_13:                              ;   in Loop: Header=BB20_5 Depth=1
	s_or_b32 exec_lo, exec_lo, s22
	s_andn2_b32 s20, s20, exec_lo
	s_and_b32 s22, s24, exec_lo
	s_andn2_b32 s13, s13, exec_lo
	s_and_b32 s23, s23, exec_lo
	s_or_b32 s20, s20, s22
	s_or_b32 s13, s13, s23
	s_and_saveexec_b32 s22, s0
	s_cbranch_execz .LBB20_4
; %bb.14:                               ;   in Loop: Header=BB20_5 Depth=1
	v_add_co_u32 v3, vcc_lo, v3, s8
	v_add_co_ci_u32_e64 v4, null, s9, v4, vcc_lo
	v_add_co_u32 v7, s0, v7, s10
	v_cmp_le_i32_e32 vcc_lo, s2, v3
	v_add_co_ci_u32_e64 v8, null, s11, v8, s0
	s_andn2_b32 s20, s20, exec_lo
	s_andn2_b32 s13, s13, exec_lo
	s_orn2_b32 s21, vcc_lo, exec_lo
	s_branch .LBB20_4
.LBB20_15:
	s_or_b32 exec_lo, exec_lo, s3
	s_xor_b32 s2, s12, -1
	s_mov_b32 s0, 0
	s_and_saveexec_b32 s3, s2
	s_xor_b32 s2, exec_lo, s3
	s_cbranch_execnz .LBB20_20
; %bb.16:
	s_andn2_saveexec_b32 s1, s2
	s_cbranch_execnz .LBB20_22
.LBB20_17:
	s_or_b32 exec_lo, exec_lo, s1
	s_and_b32 exec_lo, exec_lo, s0
.LBB20_18:
	; divergent unreachable
.LBB20_19:
	s_endpgm
.LBB20_20:
	s_and_saveexec_b32 s3, s1
	s_xor_b32 s1, exec_lo, s3
	s_cbranch_execnz .LBB20_23
.LBB20_21:
	s_or_b32 exec_lo, exec_lo, s1
	s_and_b32 s0, s0, exec_lo
	s_andn2_saveexec_b32 s1, s2
	s_cbranch_execz .LBB20_17
.LBB20_22:
	s_or_b32 s0, s0, exec_lo
	s_trap 2
	s_or_b32 exec_lo, exec_lo, s1
	s_and_b32 exec_lo, exec_lo, s0
	s_cbranch_execnz .LBB20_18
	s_branch .LBB20_19
.LBB20_23:
	s_mov_b32 s0, exec_lo
	s_trap 2
	s_branch .LBB20_21
	.section	.rodata,"a",@progbits
	.p2align	6, 0x0
	.amdhsa_kernel _ZN2at6native12_GLOBAL__N_126nll_loss2d_backward_kernelIdEEvPT_PKS3_PKlS6_S6_biiil
		.amdhsa_group_segment_fixed_size 0
		.amdhsa_private_segment_fixed_size 0
		.amdhsa_kernarg_size 320
		.amdhsa_user_sgpr_count 6
		.amdhsa_user_sgpr_private_segment_buffer 1
		.amdhsa_user_sgpr_dispatch_ptr 0
		.amdhsa_user_sgpr_queue_ptr 0
		.amdhsa_user_sgpr_kernarg_segment_ptr 1
		.amdhsa_user_sgpr_dispatch_id 0
		.amdhsa_user_sgpr_flat_scratch_init 0
		.amdhsa_user_sgpr_private_segment_size 0
		.amdhsa_wavefront_size32 1
		.amdhsa_uses_dynamic_stack 0
		.amdhsa_system_sgpr_private_segment_wavefront_offset 0
		.amdhsa_system_sgpr_workgroup_id_x 1
		.amdhsa_system_sgpr_workgroup_id_y 0
		.amdhsa_system_sgpr_workgroup_id_z 0
		.amdhsa_system_sgpr_workgroup_info 0
		.amdhsa_system_vgpr_workitem_id 0
		.amdhsa_next_free_vgpr 15
		.amdhsa_next_free_sgpr 27
		.amdhsa_reserve_vcc 1
		.amdhsa_reserve_flat_scratch 0
		.amdhsa_float_round_mode_32 0
		.amdhsa_float_round_mode_16_64 0
		.amdhsa_float_denorm_mode_32 3
		.amdhsa_float_denorm_mode_16_64 3
		.amdhsa_dx10_clamp 1
		.amdhsa_ieee_mode 1
		.amdhsa_fp16_overflow 0
		.amdhsa_workgroup_processor_mode 1
		.amdhsa_memory_ordered 1
		.amdhsa_forward_progress 1
		.amdhsa_shared_vgpr_count 0
		.amdhsa_exception_fp_ieee_invalid_op 0
		.amdhsa_exception_fp_denorm_src 0
		.amdhsa_exception_fp_ieee_div_zero 0
		.amdhsa_exception_fp_ieee_overflow 0
		.amdhsa_exception_fp_ieee_underflow 0
		.amdhsa_exception_fp_ieee_inexact 0
		.amdhsa_exception_int_div_zero 0
	.end_amdhsa_kernel
	.section	.text._ZN2at6native12_GLOBAL__N_126nll_loss2d_backward_kernelIdEEvPT_PKS3_PKlS6_S6_biiil,"axG",@progbits,_ZN2at6native12_GLOBAL__N_126nll_loss2d_backward_kernelIdEEvPT_PKS3_PKlS6_S6_biiil,comdat
.Lfunc_end20:
	.size	_ZN2at6native12_GLOBAL__N_126nll_loss2d_backward_kernelIdEEvPT_PKS3_PKlS6_S6_biiil, .Lfunc_end20-_ZN2at6native12_GLOBAL__N_126nll_loss2d_backward_kernelIdEEvPT_PKS3_PKlS6_S6_biiil
                                        ; -- End function
	.set _ZN2at6native12_GLOBAL__N_126nll_loss2d_backward_kernelIdEEvPT_PKS3_PKlS6_S6_biiil.num_vgpr, 15
	.set _ZN2at6native12_GLOBAL__N_126nll_loss2d_backward_kernelIdEEvPT_PKS3_PKlS6_S6_biiil.num_agpr, 0
	.set _ZN2at6native12_GLOBAL__N_126nll_loss2d_backward_kernelIdEEvPT_PKS3_PKlS6_S6_biiil.numbered_sgpr, 27
	.set _ZN2at6native12_GLOBAL__N_126nll_loss2d_backward_kernelIdEEvPT_PKS3_PKlS6_S6_biiil.num_named_barrier, 0
	.set _ZN2at6native12_GLOBAL__N_126nll_loss2d_backward_kernelIdEEvPT_PKS3_PKlS6_S6_biiil.private_seg_size, 0
	.set _ZN2at6native12_GLOBAL__N_126nll_loss2d_backward_kernelIdEEvPT_PKS3_PKlS6_S6_biiil.uses_vcc, 1
	.set _ZN2at6native12_GLOBAL__N_126nll_loss2d_backward_kernelIdEEvPT_PKS3_PKlS6_S6_biiil.uses_flat_scratch, 0
	.set _ZN2at6native12_GLOBAL__N_126nll_loss2d_backward_kernelIdEEvPT_PKS3_PKlS6_S6_biiil.has_dyn_sized_stack, 0
	.set _ZN2at6native12_GLOBAL__N_126nll_loss2d_backward_kernelIdEEvPT_PKS3_PKlS6_S6_biiil.has_recursion, 0
	.set _ZN2at6native12_GLOBAL__N_126nll_loss2d_backward_kernelIdEEvPT_PKS3_PKlS6_S6_biiil.has_indirect_call, 0
	.section	.AMDGPU.csdata,"",@progbits
; Kernel info:
; codeLenInByte = 896
; TotalNumSgprs: 29
; NumVgprs: 15
; ScratchSize: 0
; MemoryBound: 0
; FloatMode: 240
; IeeeMode: 1
; LDSByteSize: 0 bytes/workgroup (compile time only)
; SGPRBlocks: 0
; VGPRBlocks: 1
; NumSGPRsForWavesPerEU: 29
; NumVGPRsForWavesPerEU: 15
; Occupancy: 16
; WaveLimiterHint : 1
; COMPUTE_PGM_RSRC2:SCRATCH_EN: 0
; COMPUTE_PGM_RSRC2:USER_SGPR: 6
; COMPUTE_PGM_RSRC2:TRAP_HANDLER: 0
; COMPUTE_PGM_RSRC2:TGID_X_EN: 1
; COMPUTE_PGM_RSRC2:TGID_Y_EN: 0
; COMPUTE_PGM_RSRC2:TGID_Z_EN: 0
; COMPUTE_PGM_RSRC2:TIDIG_COMP_CNT: 0
	.section	.text._ZN2at6native12_GLOBAL__N_126nll_loss2d_backward_kernelIfEEvPT_PKS3_PKlS6_S6_biiil,"axG",@progbits,_ZN2at6native12_GLOBAL__N_126nll_loss2d_backward_kernelIfEEvPT_PKS3_PKlS6_S6_biiil,comdat
	.globl	_ZN2at6native12_GLOBAL__N_126nll_loss2d_backward_kernelIfEEvPT_PKS3_PKlS6_S6_biiil ; -- Begin function _ZN2at6native12_GLOBAL__N_126nll_loss2d_backward_kernelIfEEvPT_PKS3_PKlS6_S6_biiil
	.p2align	8
	.type	_ZN2at6native12_GLOBAL__N_126nll_loss2d_backward_kernelIfEEvPT_PKS3_PKlS6_S6_biiil,@function
_ZN2at6native12_GLOBAL__N_126nll_loss2d_backward_kernelIfEEvPT_PKS3_PKlS6_S6_biiil: ; @_ZN2at6native12_GLOBAL__N_126nll_loss2d_backward_kernelIfEEvPT_PKS3_PKlS6_S6_biiil
; %bb.0:
	s_load_dwordx8 s[8:15], s[4:5], 0x0
	s_waitcnt lgkmcnt(0)
	s_load_dword s7, s[10:11], 0x0
	s_clause 0x1
	s_load_dwordx4 s[0:3], s[4:5], 0x28
	s_load_dwordx2 s[10:11], s[4:5], 0x20
	s_waitcnt lgkmcnt(0)
	v_mov_b32_e32 v8, s7
	s_bitcmp0_b32 s0, 0
	s_cbranch_scc1 .LBB21_2
; %bb.1:
	s_load_dword s0, s[10:11], 0x0
	s_waitcnt lgkmcnt(0)
	v_div_scale_f32 v1, null, s0, s0, s7
	v_rcp_f32_e32 v2, v1
	v_fma_f32 v3, -v1, v2, 1.0
	v_fmac_f32_e32 v2, v3, v2
	v_div_scale_f32 v3, vcc_lo, s7, s0, s7
	v_mul_f32_e32 v4, v3, v2
	v_fma_f32 v5, -v1, v4, v3
	v_fmac_f32_e32 v4, v5, v2
	v_fma_f32 v1, -v1, v4, v3
	v_div_fmas_f32 v1, v1, v2, v4
	v_div_fixup_f32 v8, v1, s0, s7
.LBB21_2:
	v_cvt_f32_u32_e32 v1, s3
	s_sub_i32 s7, 0, s3
	s_load_dword s10, s[4:5], 0x4c
	v_rcp_iflag_f32_e32 v1, v1
	v_mul_f32_e32 v1, 0x4f7ffffe, v1
	v_cvt_u32_f32_e32 v1, v1
	v_readfirstlane_b32 s0, v1
	s_mul_i32 s7, s7, s0
	s_mul_hi_u32 s7, s0, s7
	s_add_i32 s0, s0, s7
	s_mul_hi_u32 s0, s6, s0
	s_mul_i32 s7, s0, s3
	s_add_i32 s11, s0, 1
	s_sub_i32 s7, s6, s7
	s_sub_i32 s16, s7, s3
	s_cmp_ge_u32 s7, s3
	s_cselect_b32 s0, s11, s0
	s_cselect_b32 s7, s16, s7
	s_add_i32 s11, s0, 1
	s_cmp_ge_u32 s7, s3
	s_cselect_b32 s7, s11, s0
	s_waitcnt lgkmcnt(0)
	s_and_b32 s0, s10, 0xffff
	s_mul_i32 s11, s7, s3
	s_sub_i32 s6, s6, s11
	v_mad_u64_u32 v[0:1], null, s6, s0, v[0:1]
	s_mov_b32 s6, exec_lo
	v_cmpx_gt_i32_e64 s2, v0
	s_cbranch_execz .LBB21_19
; %bb.3:
	s_mul_i32 s10, s7, s2
	s_load_dwordx2 s[4:5], s[4:5], 0x38
	s_mul_i32 s6, s10, s1
	v_ashrrev_i32_e32 v1, 31, v0
	s_ashr_i32 s7, s6, 31
	s_ashr_i32 s11, s10, 31
	s_lshl_b64 s[6:7], s[6:7], 2
	v_xor_b32_e32 v9, 0x80000000, v8
	s_add_u32 s16, s8, s6
	s_addc_u32 s17, s9, s7
	s_ashr_i32 s7, s1, 31
	s_ashr_i32 s18, s2, 31
	s_cmp_lg_u64 s[14:15], 0
	v_lshlrev_b64 v[2:3], 3, v[0:1]
	s_cselect_b32 s19, -1, 0
	s_lshl_b64 s[10:11], s[10:11], 3
	s_mul_i32 s8, s3, s0
	s_add_u32 s0, s12, s10
	s_addc_u32 s3, s13, s11
	v_add_co_u32 v2, vcc_lo, s0, v2
	v_add_co_ci_u32_e64 v3, null, s3, v3, vcc_lo
	s_ashr_i32 s9, s8, 31
	s_mov_b32 s6, s1
	s_lshl_b64 s[10:11], s[8:9], 3
	s_mov_b32 s3, 0
                                        ; implicit-def: $sgpr12
                                        ; implicit-def: $sgpr1
                                        ; implicit-def: $sgpr13
                                        ; implicit-def: $sgpr20
	s_branch .LBB21_5
.LBB21_4:                               ;   in Loop: Header=BB21_5 Depth=1
	s_or_b32 exec_lo, exec_lo, s22
	s_and_b32 s0, exec_lo, s21
	s_or_b32 s3, s0, s3
	s_andn2_b32 s0, s1, exec_lo
	s_and_b32 s1, s20, exec_lo
	s_andn2_b32 s12, s12, exec_lo
	s_and_b32 s21, s13, exec_lo
	s_or_b32 s1, s0, s1
	s_or_b32 s12, s12, s21
	s_andn2_b32 exec_lo, exec_lo, s3
	s_cbranch_execz .LBB21_15
.LBB21_5:                               ; =>This Inner Loop Header: Depth=1
	global_load_dwordx2 v[4:5], v[2:3], off
	s_mov_b32 s21, -1
	s_mov_b32 s0, -1
	s_mov_b32 s22, exec_lo
                                        ; implicit-def: $sgpr23
                                        ; implicit-def: $sgpr24
	s_waitcnt vmcnt(0) lgkmcnt(0)
	v_cmpx_ne_u64_e64 s[4:5], v[4:5]
	s_cbranch_execz .LBB21_13
; %bb.6:                                ;   in Loop: Header=BB21_5 Depth=1
	v_cmp_lt_i64_e32 vcc_lo, -1, v[4:5]
	v_cmp_gt_i64_e64 s0, s[6:7], v[4:5]
	s_mov_b32 s23, -1
	s_mov_b32 s25, 0
	s_mov_b32 s24, 0
	s_and_b32 s26, vcc_lo, s0
	s_and_saveexec_b32 s0, s26
	s_cbranch_execz .LBB21_12
; %bb.7:                                ;   in Loop: Header=BB21_5 Depth=1
	v_mad_u64_u32 v[6:7], null, v4, s2, v[0:1]
	v_mul_lo_u32 v10, v4, s18
	v_mul_lo_u32 v11, v5, s2
	s_mov_b32 s23, exec_lo
	v_add3_u32 v7, v11, v7, v10
	v_cmpx_lt_i64_e32 -1, v[6:7]
	s_cbranch_execz .LBB21_11
; %bb.8:                                ;   in Loop: Header=BB21_5 Depth=1
	v_mov_b32_e32 v10, v9
	s_andn2_b32 vcc_lo, exec_lo, s19
	s_cbranch_vccnz .LBB21_10
; %bb.9:                                ;   in Loop: Header=BB21_5 Depth=1
	v_lshlrev_b64 v[4:5], 2, v[4:5]
	v_add_co_u32 v4, vcc_lo, s14, v4
	v_add_co_ci_u32_e64 v5, null, s15, v5, vcc_lo
	global_load_dword v4, v[4:5], off
	s_waitcnt vmcnt(0)
	v_mul_f32_e64 v10, v4, -v8
.LBB21_10:                              ;   in Loop: Header=BB21_5 Depth=1
	v_lshlrev_b64 v[4:5], 2, v[6:7]
	s_mov_b32 s25, exec_lo
	v_add_co_u32 v4, vcc_lo, s16, v4
	v_add_co_ci_u32_e64 v5, null, s17, v5, vcc_lo
	global_store_dword v[4:5], v10, off
.LBB21_11:                              ;   in Loop: Header=BB21_5 Depth=1
	s_or_b32 exec_lo, exec_lo, s23
	s_mov_b32 s24, exec_lo
	s_xor_b32 s23, exec_lo, -1
	s_and_b32 s25, s25, exec_lo
.LBB21_12:                              ;   in Loop: Header=BB21_5 Depth=1
	s_or_b32 exec_lo, exec_lo, s0
	s_orn2_b32 s0, s25, exec_lo
.LBB21_13:                              ;   in Loop: Header=BB21_5 Depth=1
	s_or_b32 exec_lo, exec_lo, s22
	s_andn2_b32 s20, s20, exec_lo
	s_and_b32 s22, s24, exec_lo
	s_andn2_b32 s13, s13, exec_lo
	s_and_b32 s23, s23, exec_lo
	s_or_b32 s20, s20, s22
	s_or_b32 s13, s13, s23
	s_and_saveexec_b32 s22, s0
	s_cbranch_execz .LBB21_4
; %bb.14:                               ;   in Loop: Header=BB21_5 Depth=1
	v_add_co_u32 v0, vcc_lo, v0, s8
	v_add_co_ci_u32_e64 v1, null, s9, v1, vcc_lo
	v_add_co_u32 v2, s0, v2, s10
	v_cmp_le_i32_e32 vcc_lo, s2, v0
	v_add_co_ci_u32_e64 v3, null, s11, v3, s0
	s_andn2_b32 s20, s20, exec_lo
	s_andn2_b32 s13, s13, exec_lo
	s_orn2_b32 s21, vcc_lo, exec_lo
	s_branch .LBB21_4
.LBB21_15:
	s_or_b32 exec_lo, exec_lo, s3
	s_xor_b32 s2, s12, -1
	s_mov_b32 s0, 0
	s_and_saveexec_b32 s3, s2
	s_xor_b32 s2, exec_lo, s3
	s_cbranch_execnz .LBB21_20
; %bb.16:
	s_andn2_saveexec_b32 s1, s2
	s_cbranch_execnz .LBB21_22
.LBB21_17:
	s_or_b32 exec_lo, exec_lo, s1
	s_and_b32 exec_lo, exec_lo, s0
.LBB21_18:
	; divergent unreachable
.LBB21_19:
	s_endpgm
.LBB21_20:
	s_and_saveexec_b32 s3, s1
	s_xor_b32 s1, exec_lo, s3
	s_cbranch_execnz .LBB21_23
.LBB21_21:
	s_or_b32 exec_lo, exec_lo, s1
	s_and_b32 s0, s0, exec_lo
	s_andn2_saveexec_b32 s1, s2
	s_cbranch_execz .LBB21_17
.LBB21_22:
	s_or_b32 s0, s0, exec_lo
	s_trap 2
	s_or_b32 exec_lo, exec_lo, s1
	s_and_b32 exec_lo, exec_lo, s0
	s_cbranch_execnz .LBB21_18
	s_branch .LBB21_19
.LBB21_23:
	s_mov_b32 s0, exec_lo
	s_trap 2
	s_branch .LBB21_21
	.section	.rodata,"a",@progbits
	.p2align	6, 0x0
	.amdhsa_kernel _ZN2at6native12_GLOBAL__N_126nll_loss2d_backward_kernelIfEEvPT_PKS3_PKlS6_S6_biiil
		.amdhsa_group_segment_fixed_size 0
		.amdhsa_private_segment_fixed_size 0
		.amdhsa_kernarg_size 320
		.amdhsa_user_sgpr_count 6
		.amdhsa_user_sgpr_private_segment_buffer 1
		.amdhsa_user_sgpr_dispatch_ptr 0
		.amdhsa_user_sgpr_queue_ptr 0
		.amdhsa_user_sgpr_kernarg_segment_ptr 1
		.amdhsa_user_sgpr_dispatch_id 0
		.amdhsa_user_sgpr_flat_scratch_init 0
		.amdhsa_user_sgpr_private_segment_size 0
		.amdhsa_wavefront_size32 1
		.amdhsa_uses_dynamic_stack 0
		.amdhsa_system_sgpr_private_segment_wavefront_offset 0
		.amdhsa_system_sgpr_workgroup_id_x 1
		.amdhsa_system_sgpr_workgroup_id_y 0
		.amdhsa_system_sgpr_workgroup_id_z 0
		.amdhsa_system_sgpr_workgroup_info 0
		.amdhsa_system_vgpr_workitem_id 0
		.amdhsa_next_free_vgpr 12
		.amdhsa_next_free_sgpr 27
		.amdhsa_reserve_vcc 1
		.amdhsa_reserve_flat_scratch 0
		.amdhsa_float_round_mode_32 0
		.amdhsa_float_round_mode_16_64 0
		.amdhsa_float_denorm_mode_32 3
		.amdhsa_float_denorm_mode_16_64 3
		.amdhsa_dx10_clamp 1
		.amdhsa_ieee_mode 1
		.amdhsa_fp16_overflow 0
		.amdhsa_workgroup_processor_mode 1
		.amdhsa_memory_ordered 1
		.amdhsa_forward_progress 1
		.amdhsa_shared_vgpr_count 0
		.amdhsa_exception_fp_ieee_invalid_op 0
		.amdhsa_exception_fp_denorm_src 0
		.amdhsa_exception_fp_ieee_div_zero 0
		.amdhsa_exception_fp_ieee_overflow 0
		.amdhsa_exception_fp_ieee_underflow 0
		.amdhsa_exception_fp_ieee_inexact 0
		.amdhsa_exception_int_div_zero 0
	.end_amdhsa_kernel
	.section	.text._ZN2at6native12_GLOBAL__N_126nll_loss2d_backward_kernelIfEEvPT_PKS3_PKlS6_S6_biiil,"axG",@progbits,_ZN2at6native12_GLOBAL__N_126nll_loss2d_backward_kernelIfEEvPT_PKS3_PKlS6_S6_biiil,comdat
.Lfunc_end21:
	.size	_ZN2at6native12_GLOBAL__N_126nll_loss2d_backward_kernelIfEEvPT_PKS3_PKlS6_S6_biiil, .Lfunc_end21-_ZN2at6native12_GLOBAL__N_126nll_loss2d_backward_kernelIfEEvPT_PKS3_PKlS6_S6_biiil
                                        ; -- End function
	.set _ZN2at6native12_GLOBAL__N_126nll_loss2d_backward_kernelIfEEvPT_PKS3_PKlS6_S6_biiil.num_vgpr, 12
	.set _ZN2at6native12_GLOBAL__N_126nll_loss2d_backward_kernelIfEEvPT_PKS3_PKlS6_S6_biiil.num_agpr, 0
	.set _ZN2at6native12_GLOBAL__N_126nll_loss2d_backward_kernelIfEEvPT_PKS3_PKlS6_S6_biiil.numbered_sgpr, 27
	.set _ZN2at6native12_GLOBAL__N_126nll_loss2d_backward_kernelIfEEvPT_PKS3_PKlS6_S6_biiil.num_named_barrier, 0
	.set _ZN2at6native12_GLOBAL__N_126nll_loss2d_backward_kernelIfEEvPT_PKS3_PKlS6_S6_biiil.private_seg_size, 0
	.set _ZN2at6native12_GLOBAL__N_126nll_loss2d_backward_kernelIfEEvPT_PKS3_PKlS6_S6_biiil.uses_vcc, 1
	.set _ZN2at6native12_GLOBAL__N_126nll_loss2d_backward_kernelIfEEvPT_PKS3_PKlS6_S6_biiil.uses_flat_scratch, 0
	.set _ZN2at6native12_GLOBAL__N_126nll_loss2d_backward_kernelIfEEvPT_PKS3_PKlS6_S6_biiil.has_dyn_sized_stack, 0
	.set _ZN2at6native12_GLOBAL__N_126nll_loss2d_backward_kernelIfEEvPT_PKS3_PKlS6_S6_biiil.has_recursion, 0
	.set _ZN2at6native12_GLOBAL__N_126nll_loss2d_backward_kernelIfEEvPT_PKS3_PKlS6_S6_biiil.has_indirect_call, 0
	.section	.AMDGPU.csdata,"",@progbits
; Kernel info:
; codeLenInByte = 872
; TotalNumSgprs: 29
; NumVgprs: 12
; ScratchSize: 0
; MemoryBound: 0
; FloatMode: 240
; IeeeMode: 1
; LDSByteSize: 0 bytes/workgroup (compile time only)
; SGPRBlocks: 0
; VGPRBlocks: 1
; NumSGPRsForWavesPerEU: 29
; NumVGPRsForWavesPerEU: 12
; Occupancy: 16
; WaveLimiterHint : 1
; COMPUTE_PGM_RSRC2:SCRATCH_EN: 0
; COMPUTE_PGM_RSRC2:USER_SGPR: 6
; COMPUTE_PGM_RSRC2:TRAP_HANDLER: 0
; COMPUTE_PGM_RSRC2:TGID_X_EN: 1
; COMPUTE_PGM_RSRC2:TGID_Y_EN: 0
; COMPUTE_PGM_RSRC2:TGID_Z_EN: 0
; COMPUTE_PGM_RSRC2:TIDIG_COMP_CNT: 0
	.section	.text._ZN2at6native12_GLOBAL__N_126nll_loss2d_backward_kernelIN3c104HalfEEEvPT_PKS5_PKlS8_S8_biiil,"axG",@progbits,_ZN2at6native12_GLOBAL__N_126nll_loss2d_backward_kernelIN3c104HalfEEEvPT_PKS5_PKlS8_S8_biiil,comdat
	.globl	_ZN2at6native12_GLOBAL__N_126nll_loss2d_backward_kernelIN3c104HalfEEEvPT_PKS5_PKlS8_S8_biiil ; -- Begin function _ZN2at6native12_GLOBAL__N_126nll_loss2d_backward_kernelIN3c104HalfEEEvPT_PKS5_PKlS8_S8_biiil
	.p2align	8
	.type	_ZN2at6native12_GLOBAL__N_126nll_loss2d_backward_kernelIN3c104HalfEEEvPT_PKS5_PKlS8_S8_biiil,@function
_ZN2at6native12_GLOBAL__N_126nll_loss2d_backward_kernelIN3c104HalfEEEvPT_PKS5_PKlS8_S8_biiil: ; @_ZN2at6native12_GLOBAL__N_126nll_loss2d_backward_kernelIN3c104HalfEEEvPT_PKS5_PKlS8_S8_biiil
; %bb.0:
	s_load_dwordx8 s[8:15], s[4:5], 0x0
	v_mov_b32_e32 v1, 0
	s_waitcnt lgkmcnt(0)
	global_load_ushort v8, v1, s[10:11]
	s_clause 0x1
	s_load_dwordx4 s[0:3], s[4:5], 0x28
	s_load_dwordx2 s[10:11], s[4:5], 0x20
	s_waitcnt lgkmcnt(0)
	s_bitcmp0_b32 s0, 0
	s_cbranch_scc1 .LBB22_2
; %bb.1:
	global_load_ushort v1, v1, s[10:11]
	s_waitcnt vmcnt(1)
	v_cvt_f32_f16_e32 v3, v8
	s_waitcnt vmcnt(0)
	v_cvt_f32_f16_e32 v2, v1
	v_rcp_f32_e32 v2, v2
	v_mul_f32_e32 v3, v3, v2
	v_fma_mix_f32 v4, -v1, v3, v8 op_sel_hi:[1,0,1]
	v_fmac_f32_e32 v3, v4, v2
	v_fma_mix_f32 v4, -v1, v3, v8 op_sel_hi:[1,0,1]
	v_mul_f32_e32 v2, v4, v2
	v_and_b32_e32 v2, 0xff800000, v2
	v_add_f32_e32 v2, v2, v3
	v_cvt_f16_f32_e32 v2, v2
	v_div_fixup_f16 v8, v2, v1, v8
.LBB22_2:
	v_cvt_f32_u32_e32 v1, s3
	s_sub_i32 s7, 0, s3
	s_load_dword s10, s[4:5], 0x4c
	v_rcp_iflag_f32_e32 v1, v1
	v_mul_f32_e32 v1, 0x4f7ffffe, v1
	v_cvt_u32_f32_e32 v1, v1
	v_readfirstlane_b32 s0, v1
	s_mul_i32 s7, s7, s0
	s_mul_hi_u32 s7, s0, s7
	s_add_i32 s0, s0, s7
	s_mul_hi_u32 s0, s6, s0
	s_mul_i32 s7, s0, s3
	s_add_i32 s11, s0, 1
	s_sub_i32 s7, s6, s7
	s_sub_i32 s16, s7, s3
	s_cmp_ge_u32 s7, s3
	s_cselect_b32 s0, s11, s0
	s_cselect_b32 s7, s16, s7
	s_add_i32 s11, s0, 1
	s_cmp_ge_u32 s7, s3
	s_cselect_b32 s7, s11, s0
	s_waitcnt lgkmcnt(0)
	s_and_b32 s0, s10, 0xffff
	s_mul_i32 s11, s7, s3
	s_sub_i32 s6, s6, s11
	v_mad_u64_u32 v[0:1], null, s6, s0, v[0:1]
	s_mov_b32 s6, exec_lo
	v_cmpx_gt_i32_e64 s2, v0
	s_cbranch_execz .LBB22_19
; %bb.3:
	s_mul_i32 s10, s7, s2
	s_load_dwordx2 s[4:5], s[4:5], 0x38
	s_mul_i32 s6, s10, s1
	v_ashrrev_i32_e32 v1, 31, v0
	s_ashr_i32 s7, s6, 31
	s_ashr_i32 s11, s10, 31
	s_lshl_b64 s[6:7], s[6:7], 1
	s_waitcnt vmcnt(0)
	v_xor_b32_e32 v9, 0x8000, v8
	s_add_u32 s16, s8, s6
	s_addc_u32 s17, s9, s7
	s_ashr_i32 s7, s1, 31
	s_ashr_i32 s18, s2, 31
	s_cmp_lg_u64 s[14:15], 0
	v_lshlrev_b64 v[2:3], 3, v[0:1]
	s_cselect_b32 s19, -1, 0
	s_lshl_b64 s[10:11], s[10:11], 3
	s_mul_i32 s8, s3, s0
	s_add_u32 s0, s12, s10
	s_addc_u32 s3, s13, s11
	v_add_co_u32 v2, vcc_lo, s0, v2
	v_add_co_ci_u32_e64 v3, null, s3, v3, vcc_lo
	s_ashr_i32 s9, s8, 31
	s_mov_b32 s6, s1
	s_lshl_b64 s[10:11], s[8:9], 3
	s_mov_b32 s3, 0
                                        ; implicit-def: $sgpr12
                                        ; implicit-def: $sgpr1
                                        ; implicit-def: $sgpr13
                                        ; implicit-def: $sgpr20
	s_branch .LBB22_5
.LBB22_4:                               ;   in Loop: Header=BB22_5 Depth=1
	s_or_b32 exec_lo, exec_lo, s22
	s_and_b32 s0, exec_lo, s21
	s_or_b32 s3, s0, s3
	s_andn2_b32 s0, s1, exec_lo
	s_and_b32 s1, s20, exec_lo
	s_andn2_b32 s12, s12, exec_lo
	s_and_b32 s21, s13, exec_lo
	s_or_b32 s1, s0, s1
	s_or_b32 s12, s12, s21
	s_andn2_b32 exec_lo, exec_lo, s3
	s_cbranch_execz .LBB22_15
.LBB22_5:                               ; =>This Inner Loop Header: Depth=1
	global_load_dwordx2 v[4:5], v[2:3], off
	s_mov_b32 s21, -1
	s_mov_b32 s0, -1
	s_mov_b32 s22, exec_lo
                                        ; implicit-def: $sgpr23
                                        ; implicit-def: $sgpr24
	s_waitcnt vmcnt(0) lgkmcnt(0)
	v_cmpx_ne_u64_e64 s[4:5], v[4:5]
	s_cbranch_execz .LBB22_13
; %bb.6:                                ;   in Loop: Header=BB22_5 Depth=1
	v_cmp_lt_i64_e32 vcc_lo, -1, v[4:5]
	v_cmp_gt_i64_e64 s0, s[6:7], v[4:5]
	s_mov_b32 s23, -1
	s_mov_b32 s25, 0
	s_mov_b32 s24, 0
	s_and_b32 s26, vcc_lo, s0
	s_and_saveexec_b32 s0, s26
	s_cbranch_execz .LBB22_12
; %bb.7:                                ;   in Loop: Header=BB22_5 Depth=1
	v_mad_u64_u32 v[6:7], null, v4, s2, v[0:1]
	v_mul_lo_u32 v10, v4, s18
	v_mul_lo_u32 v11, v5, s2
	s_mov_b32 s23, exec_lo
	v_add3_u32 v7, v11, v7, v10
	v_cmpx_lt_i64_e32 -1, v[6:7]
	s_cbranch_execz .LBB22_11
; %bb.8:                                ;   in Loop: Header=BB22_5 Depth=1
	v_mov_b32_e32 v10, v9
	s_andn2_b32 vcc_lo, exec_lo, s19
	s_cbranch_vccnz .LBB22_10
; %bb.9:                                ;   in Loop: Header=BB22_5 Depth=1
	v_lshlrev_b64 v[4:5], 1, v[4:5]
	v_add_co_u32 v4, vcc_lo, s14, v4
	v_add_co_ci_u32_e64 v5, null, s15, v5, vcc_lo
	global_load_ushort v4, v[4:5], off
	s_waitcnt vmcnt(0)
	v_mul_f16_e64 v10, v4, -v8
.LBB22_10:                              ;   in Loop: Header=BB22_5 Depth=1
	v_lshlrev_b64 v[4:5], 1, v[6:7]
	s_mov_b32 s25, exec_lo
	v_add_co_u32 v4, vcc_lo, s16, v4
	v_add_co_ci_u32_e64 v5, null, s17, v5, vcc_lo
	global_store_short v[4:5], v10, off
.LBB22_11:                              ;   in Loop: Header=BB22_5 Depth=1
	s_or_b32 exec_lo, exec_lo, s23
	s_mov_b32 s24, exec_lo
	s_xor_b32 s23, exec_lo, -1
	s_and_b32 s25, s25, exec_lo
.LBB22_12:                              ;   in Loop: Header=BB22_5 Depth=1
	s_or_b32 exec_lo, exec_lo, s0
	s_orn2_b32 s0, s25, exec_lo
.LBB22_13:                              ;   in Loop: Header=BB22_5 Depth=1
	s_or_b32 exec_lo, exec_lo, s22
	s_andn2_b32 s20, s20, exec_lo
	s_and_b32 s22, s24, exec_lo
	s_andn2_b32 s13, s13, exec_lo
	s_and_b32 s23, s23, exec_lo
	s_or_b32 s20, s20, s22
	s_or_b32 s13, s13, s23
	s_and_saveexec_b32 s22, s0
	s_cbranch_execz .LBB22_4
; %bb.14:                               ;   in Loop: Header=BB22_5 Depth=1
	v_add_co_u32 v0, vcc_lo, v0, s8
	v_add_co_ci_u32_e64 v1, null, s9, v1, vcc_lo
	v_add_co_u32 v2, s0, v2, s10
	v_cmp_le_i32_e32 vcc_lo, s2, v0
	v_add_co_ci_u32_e64 v3, null, s11, v3, s0
	s_andn2_b32 s20, s20, exec_lo
	s_andn2_b32 s13, s13, exec_lo
	s_orn2_b32 s21, vcc_lo, exec_lo
	s_branch .LBB22_4
.LBB22_15:
	s_or_b32 exec_lo, exec_lo, s3
	s_xor_b32 s2, s12, -1
	s_mov_b32 s0, 0
	s_and_saveexec_b32 s3, s2
	s_xor_b32 s2, exec_lo, s3
	s_cbranch_execnz .LBB22_20
; %bb.16:
	s_andn2_saveexec_b32 s1, s2
	s_cbranch_execnz .LBB22_22
.LBB22_17:
	s_or_b32 exec_lo, exec_lo, s1
	s_and_b32 exec_lo, exec_lo, s0
.LBB22_18:
	; divergent unreachable
.LBB22_19:
	s_endpgm
.LBB22_20:
	s_and_saveexec_b32 s3, s1
	s_xor_b32 s1, exec_lo, s3
	s_cbranch_execnz .LBB22_23
.LBB22_21:
	s_or_b32 exec_lo, exec_lo, s1
	s_and_b32 s0, s0, exec_lo
	s_andn2_saveexec_b32 s1, s2
	s_cbranch_execz .LBB22_17
.LBB22_22:
	s_or_b32 s0, s0, exec_lo
	s_trap 2
	s_or_b32 exec_lo, exec_lo, s1
	s_and_b32 exec_lo, exec_lo, s0
	s_cbranch_execnz .LBB22_18
	s_branch .LBB22_19
.LBB22_23:
	s_mov_b32 s0, exec_lo
	s_trap 2
	s_branch .LBB22_21
	.section	.rodata,"a",@progbits
	.p2align	6, 0x0
	.amdhsa_kernel _ZN2at6native12_GLOBAL__N_126nll_loss2d_backward_kernelIN3c104HalfEEEvPT_PKS5_PKlS8_S8_biiil
		.amdhsa_group_segment_fixed_size 0
		.amdhsa_private_segment_fixed_size 0
		.amdhsa_kernarg_size 320
		.amdhsa_user_sgpr_count 6
		.amdhsa_user_sgpr_private_segment_buffer 1
		.amdhsa_user_sgpr_dispatch_ptr 0
		.amdhsa_user_sgpr_queue_ptr 0
		.amdhsa_user_sgpr_kernarg_segment_ptr 1
		.amdhsa_user_sgpr_dispatch_id 0
		.amdhsa_user_sgpr_flat_scratch_init 0
		.amdhsa_user_sgpr_private_segment_size 0
		.amdhsa_wavefront_size32 1
		.amdhsa_uses_dynamic_stack 0
		.amdhsa_system_sgpr_private_segment_wavefront_offset 0
		.amdhsa_system_sgpr_workgroup_id_x 1
		.amdhsa_system_sgpr_workgroup_id_y 0
		.amdhsa_system_sgpr_workgroup_id_z 0
		.amdhsa_system_sgpr_workgroup_info 0
		.amdhsa_system_vgpr_workitem_id 0
		.amdhsa_next_free_vgpr 12
		.amdhsa_next_free_sgpr 27
		.amdhsa_reserve_vcc 1
		.amdhsa_reserve_flat_scratch 0
		.amdhsa_float_round_mode_32 0
		.amdhsa_float_round_mode_16_64 0
		.amdhsa_float_denorm_mode_32 3
		.amdhsa_float_denorm_mode_16_64 3
		.amdhsa_dx10_clamp 1
		.amdhsa_ieee_mode 1
		.amdhsa_fp16_overflow 0
		.amdhsa_workgroup_processor_mode 1
		.amdhsa_memory_ordered 1
		.amdhsa_forward_progress 1
		.amdhsa_shared_vgpr_count 0
		.amdhsa_exception_fp_ieee_invalid_op 0
		.amdhsa_exception_fp_denorm_src 0
		.amdhsa_exception_fp_ieee_div_zero 0
		.amdhsa_exception_fp_ieee_overflow 0
		.amdhsa_exception_fp_ieee_underflow 0
		.amdhsa_exception_fp_ieee_inexact 0
		.amdhsa_exception_int_div_zero 0
	.end_amdhsa_kernel
	.section	.text._ZN2at6native12_GLOBAL__N_126nll_loss2d_backward_kernelIN3c104HalfEEEvPT_PKS5_PKlS8_S8_biiil,"axG",@progbits,_ZN2at6native12_GLOBAL__N_126nll_loss2d_backward_kernelIN3c104HalfEEEvPT_PKS5_PKlS8_S8_biiil,comdat
.Lfunc_end22:
	.size	_ZN2at6native12_GLOBAL__N_126nll_loss2d_backward_kernelIN3c104HalfEEEvPT_PKS5_PKlS8_S8_biiil, .Lfunc_end22-_ZN2at6native12_GLOBAL__N_126nll_loss2d_backward_kernelIN3c104HalfEEEvPT_PKS5_PKlS8_S8_biiil
                                        ; -- End function
	.set _ZN2at6native12_GLOBAL__N_126nll_loss2d_backward_kernelIN3c104HalfEEEvPT_PKS5_PKlS8_S8_biiil.num_vgpr, 12
	.set _ZN2at6native12_GLOBAL__N_126nll_loss2d_backward_kernelIN3c104HalfEEEvPT_PKS5_PKlS8_S8_biiil.num_agpr, 0
	.set _ZN2at6native12_GLOBAL__N_126nll_loss2d_backward_kernelIN3c104HalfEEEvPT_PKS5_PKlS8_S8_biiil.numbered_sgpr, 27
	.set _ZN2at6native12_GLOBAL__N_126nll_loss2d_backward_kernelIN3c104HalfEEEvPT_PKS5_PKlS8_S8_biiil.num_named_barrier, 0
	.set _ZN2at6native12_GLOBAL__N_126nll_loss2d_backward_kernelIN3c104HalfEEEvPT_PKS5_PKlS8_S8_biiil.private_seg_size, 0
	.set _ZN2at6native12_GLOBAL__N_126nll_loss2d_backward_kernelIN3c104HalfEEEvPT_PKS5_PKlS8_S8_biiil.uses_vcc, 1
	.set _ZN2at6native12_GLOBAL__N_126nll_loss2d_backward_kernelIN3c104HalfEEEvPT_PKS5_PKlS8_S8_biiil.uses_flat_scratch, 0
	.set _ZN2at6native12_GLOBAL__N_126nll_loss2d_backward_kernelIN3c104HalfEEEvPT_PKS5_PKlS8_S8_biiil.has_dyn_sized_stack, 0
	.set _ZN2at6native12_GLOBAL__N_126nll_loss2d_backward_kernelIN3c104HalfEEEvPT_PKS5_PKlS8_S8_biiil.has_recursion, 0
	.set _ZN2at6native12_GLOBAL__N_126nll_loss2d_backward_kernelIN3c104HalfEEEvPT_PKS5_PKlS8_S8_biiil.has_indirect_call, 0
	.section	.AMDGPU.csdata,"",@progbits
; Kernel info:
; codeLenInByte = 872
; TotalNumSgprs: 29
; NumVgprs: 12
; ScratchSize: 0
; MemoryBound: 0
; FloatMode: 240
; IeeeMode: 1
; LDSByteSize: 0 bytes/workgroup (compile time only)
; SGPRBlocks: 0
; VGPRBlocks: 1
; NumSGPRsForWavesPerEU: 29
; NumVGPRsForWavesPerEU: 12
; Occupancy: 16
; WaveLimiterHint : 1
; COMPUTE_PGM_RSRC2:SCRATCH_EN: 0
; COMPUTE_PGM_RSRC2:USER_SGPR: 6
; COMPUTE_PGM_RSRC2:TRAP_HANDLER: 0
; COMPUTE_PGM_RSRC2:TGID_X_EN: 1
; COMPUTE_PGM_RSRC2:TGID_Y_EN: 0
; COMPUTE_PGM_RSRC2:TGID_Z_EN: 0
; COMPUTE_PGM_RSRC2:TIDIG_COMP_CNT: 0
	.section	.text._ZN2at6native12_GLOBAL__N_126nll_loss2d_backward_kernelIN3c108BFloat16EEEvPT_PKS5_PKlS8_S8_biiil,"axG",@progbits,_ZN2at6native12_GLOBAL__N_126nll_loss2d_backward_kernelIN3c108BFloat16EEEvPT_PKS5_PKlS8_S8_biiil,comdat
	.globl	_ZN2at6native12_GLOBAL__N_126nll_loss2d_backward_kernelIN3c108BFloat16EEEvPT_PKS5_PKlS8_S8_biiil ; -- Begin function _ZN2at6native12_GLOBAL__N_126nll_loss2d_backward_kernelIN3c108BFloat16EEEvPT_PKS5_PKlS8_S8_biiil
	.p2align	8
	.type	_ZN2at6native12_GLOBAL__N_126nll_loss2d_backward_kernelIN3c108BFloat16EEEvPT_PKS5_PKlS8_S8_biiil,@function
_ZN2at6native12_GLOBAL__N_126nll_loss2d_backward_kernelIN3c108BFloat16EEEvPT_PKS5_PKlS8_S8_biiil: ; @_ZN2at6native12_GLOBAL__N_126nll_loss2d_backward_kernelIN3c108BFloat16EEEvPT_PKS5_PKlS8_S8_biiil
; %bb.0:
	s_load_dwordx8 s[8:15], s[4:5], 0x0
	v_mov_b32_e32 v1, 0
	s_waitcnt lgkmcnt(0)
	global_load_ushort v2, v1, s[10:11]
	s_clause 0x1
	s_load_dwordx4 s[0:3], s[4:5], 0x28
	s_load_dwordx2 s[10:11], s[4:5], 0x20
	s_waitcnt lgkmcnt(0)
	s_bitcmp0_b32 s0, 0
	s_waitcnt vmcnt(0)
	v_readfirstlane_b32 s7, v2
	s_cbranch_scc1 .LBB23_2
; %bb.1:
	global_load_ushort v1, v1, s[10:11]
	s_lshl_b32 s0, s7, 16
	s_waitcnt vmcnt(0)
	v_lshlrev_b32_e32 v1, 16, v1
	v_div_scale_f32 v2, null, v1, v1, s0
	v_div_scale_f32 v5, vcc_lo, s0, v1, s0
	v_rcp_f32_e32 v3, v2
	v_fma_f32 v4, -v2, v3, 1.0
	v_fmac_f32_e32 v3, v4, v3
	v_mul_f32_e32 v4, v5, v3
	v_fma_f32 v6, -v2, v4, v5
	v_fmac_f32_e32 v4, v6, v3
	v_fma_f32 v2, -v2, v4, v5
	v_div_fmas_f32 v2, v2, v3, v4
	v_div_fixup_f32 v1, v2, v1, s0
	v_readfirstlane_b32 s0, v1
	v_cmp_o_f32_e32 vcc_lo, v1, v1
	s_bfe_u32 s7, s0, 0x10010
	s_add_i32 s0, s0, s7
	s_addk_i32 s0, 0x7fff
	s_lshr_b32 s0, s0, 16
	s_and_b32 s7, vcc_lo, exec_lo
	s_cselect_b32 s7, s0, 0x7fc0
.LBB23_2:
	v_cvt_f32_u32_e32 v1, s3
	s_sub_i32 s10, 0, s3
	s_load_dword s11, s[4:5], 0x4c
	v_rcp_iflag_f32_e32 v1, v1
	v_mul_f32_e32 v1, 0x4f7ffffe, v1
	v_cvt_u32_f32_e32 v1, v1
	v_readfirstlane_b32 s0, v1
	s_mul_i32 s10, s10, s0
	s_mul_hi_u32 s10, s0, s10
	s_add_i32 s0, s0, s10
	s_mul_hi_u32 s0, s6, s0
	s_mul_i32 s10, s0, s3
	s_add_i32 s16, s0, 1
	s_sub_i32 s10, s6, s10
	s_sub_i32 s17, s10, s3
	s_cmp_ge_u32 s10, s3
	s_cselect_b32 s0, s16, s0
	s_cselect_b32 s10, s17, s10
	s_add_i32 s16, s0, 1
	s_cmp_ge_u32 s10, s3
	s_cselect_b32 s10, s16, s0
	s_waitcnt lgkmcnt(0)
	s_and_b32 s0, s11, 0xffff
	s_mul_i32 s16, s10, s3
	s_sub_i32 s6, s6, s16
	v_mad_u64_u32 v[0:1], null, s6, s0, v[0:1]
	s_mov_b32 s6, exec_lo
	v_cmpx_gt_i32_e64 s2, v0
	s_cbranch_execz .LBB23_19
; %bb.3:
	s_lshl_b32 s6, s7, 16
	s_mul_i32 s10, s10, s2
	s_xor_b32 s7, s6, 0x80000000
	v_cmp_o_f32_e64 s16, s6, s6
	s_bfe_u32 s11, s7, 0x10010
	s_load_dwordx2 s[4:5], s[4:5], 0x38
	s_add_i32 s6, s7, s11
	v_ashrrev_i32_e32 v1, 31, v0
	s_add_i32 s7, s6, 0x7fff
	s_mul_i32 s6, s10, s1
	s_lshr_b32 s7, s7, 16
	s_and_b32 s11, s16, exec_lo
	s_cselect_b32 s16, s7, 0x7fc0
	s_ashr_i32 s7, s6, 31
	s_ashr_i32 s11, s10, 31
	s_lshl_b64 s[6:7], s[6:7], 1
	v_lshlrev_b64 v[2:3], 3, v[0:1]
	s_add_u32 s17, s8, s6
	s_addc_u32 s18, s9, s7
	s_ashr_i32 s7, s1, 31
	s_ashr_i32 s19, s2, 31
	s_cmp_lg_u64 s[14:15], 0
	s_mul_i32 s8, s3, s0
	s_cselect_b32 s3, -1, 0
	s_lshl_b64 s[10:11], s[10:11], 3
	s_lshl_b32 s20, s16, 16
	s_add_u32 s0, s12, s10
	s_addc_u32 s6, s13, s11
	v_add_co_u32 v2, vcc_lo, s0, v2
	v_add_co_ci_u32_e64 v3, null, s6, v3, vcc_lo
	v_mov_b32_e32 v8, 0x7fc0
	s_ashr_i32 s9, s8, 31
	s_mov_b32 s6, s1
	s_lshl_b64 s[10:11], s[8:9], 3
	s_mov_b32 s12, 0
                                        ; implicit-def: $sgpr13
                                        ; implicit-def: $sgpr1
                                        ; implicit-def: $sgpr21
                                        ; implicit-def: $sgpr22
	s_branch .LBB23_5
.LBB23_4:                               ;   in Loop: Header=BB23_5 Depth=1
	s_or_b32 exec_lo, exec_lo, s24
	s_and_b32 s0, exec_lo, s23
	s_or_b32 s12, s0, s12
	s_andn2_b32 s0, s1, exec_lo
	s_and_b32 s1, s22, exec_lo
	s_andn2_b32 s13, s13, exec_lo
	s_and_b32 s23, s21, exec_lo
	s_or_b32 s1, s0, s1
	s_or_b32 s13, s13, s23
	s_andn2_b32 exec_lo, exec_lo, s12
	s_cbranch_execz .LBB23_15
.LBB23_5:                               ; =>This Inner Loop Header: Depth=1
	global_load_dwordx2 v[4:5], v[2:3], off
	s_mov_b32 s23, -1
	s_mov_b32 s0, -1
	s_mov_b32 s24, exec_lo
                                        ; implicit-def: $sgpr25
                                        ; implicit-def: $sgpr26
	s_waitcnt vmcnt(0) lgkmcnt(0)
	v_cmpx_ne_u64_e64 s[4:5], v[4:5]
	s_cbranch_execz .LBB23_13
; %bb.6:                                ;   in Loop: Header=BB23_5 Depth=1
	v_cmp_lt_i64_e32 vcc_lo, -1, v[4:5]
	v_cmp_gt_i64_e64 s0, s[6:7], v[4:5]
	s_mov_b32 s25, -1
	s_mov_b32 s27, 0
	s_mov_b32 s26, 0
	s_and_b32 s28, vcc_lo, s0
	s_and_saveexec_b32 s0, s28
	s_cbranch_execz .LBB23_12
; %bb.7:                                ;   in Loop: Header=BB23_5 Depth=1
	v_mad_u64_u32 v[6:7], null, v4, s2, v[0:1]
	v_mul_lo_u32 v9, v4, s19
	v_mul_lo_u32 v10, v5, s2
	s_mov_b32 s25, exec_lo
	v_add3_u32 v7, v10, v7, v9
	v_cmpx_lt_i64_e32 -1, v[6:7]
	s_cbranch_execz .LBB23_11
; %bb.8:                                ;   in Loop: Header=BB23_5 Depth=1
	v_mov_b32_e32 v9, s16
	s_andn2_b32 vcc_lo, exec_lo, s3
	s_cbranch_vccnz .LBB23_10
; %bb.9:                                ;   in Loop: Header=BB23_5 Depth=1
	v_lshlrev_b64 v[4:5], 1, v[4:5]
	v_add_co_u32 v4, vcc_lo, s14, v4
	v_add_co_ci_u32_e64 v5, null, s15, v5, vcc_lo
	global_load_ushort v4, v[4:5], off
	s_waitcnt vmcnt(0)
	v_lshlrev_b32_e32 v4, 16, v4
	v_mul_f32_e32 v4, s20, v4
	v_bfe_u32 v5, v4, 16, 1
	v_cmp_o_f32_e32 vcc_lo, v4, v4
	v_add3_u32 v4, v4, v5, 0x7fff
	v_cndmask_b32_sdwa v9, v8, v4, vcc_lo dst_sel:DWORD dst_unused:UNUSED_PAD src0_sel:DWORD src1_sel:WORD_1
.LBB23_10:                              ;   in Loop: Header=BB23_5 Depth=1
	v_lshlrev_b64 v[4:5], 1, v[6:7]
	s_mov_b32 s27, exec_lo
	v_add_co_u32 v4, vcc_lo, s17, v4
	v_add_co_ci_u32_e64 v5, null, s18, v5, vcc_lo
	global_store_short v[4:5], v9, off
.LBB23_11:                              ;   in Loop: Header=BB23_5 Depth=1
	s_or_b32 exec_lo, exec_lo, s25
	s_mov_b32 s26, exec_lo
	s_xor_b32 s25, exec_lo, -1
	s_and_b32 s27, s27, exec_lo
.LBB23_12:                              ;   in Loop: Header=BB23_5 Depth=1
	s_or_b32 exec_lo, exec_lo, s0
	s_orn2_b32 s0, s27, exec_lo
.LBB23_13:                              ;   in Loop: Header=BB23_5 Depth=1
	s_or_b32 exec_lo, exec_lo, s24
	s_andn2_b32 s22, s22, exec_lo
	s_and_b32 s24, s26, exec_lo
	s_andn2_b32 s21, s21, exec_lo
	s_and_b32 s25, s25, exec_lo
	s_or_b32 s22, s22, s24
	s_or_b32 s21, s21, s25
	s_and_saveexec_b32 s24, s0
	s_cbranch_execz .LBB23_4
; %bb.14:                               ;   in Loop: Header=BB23_5 Depth=1
	v_add_co_u32 v0, vcc_lo, v0, s8
	v_add_co_ci_u32_e64 v1, null, s9, v1, vcc_lo
	v_add_co_u32 v2, s0, v2, s10
	v_cmp_le_i32_e32 vcc_lo, s2, v0
	v_add_co_ci_u32_e64 v3, null, s11, v3, s0
	s_andn2_b32 s22, s22, exec_lo
	s_andn2_b32 s21, s21, exec_lo
	s_orn2_b32 s23, vcc_lo, exec_lo
	s_branch .LBB23_4
.LBB23_15:
	s_or_b32 exec_lo, exec_lo, s12
	s_xor_b32 s2, s13, -1
	s_mov_b32 s0, 0
	s_and_saveexec_b32 s3, s2
	s_xor_b32 s2, exec_lo, s3
	s_cbranch_execnz .LBB23_20
; %bb.16:
	s_andn2_saveexec_b32 s1, s2
	s_cbranch_execnz .LBB23_22
.LBB23_17:
	s_or_b32 exec_lo, exec_lo, s1
	s_and_b32 exec_lo, exec_lo, s0
.LBB23_18:
	; divergent unreachable
.LBB23_19:
	s_endpgm
.LBB23_20:
	s_and_saveexec_b32 s3, s1
	s_xor_b32 s1, exec_lo, s3
	s_cbranch_execnz .LBB23_23
.LBB23_21:
	s_or_b32 exec_lo, exec_lo, s1
	s_and_b32 s0, s0, exec_lo
	s_andn2_saveexec_b32 s1, s2
	s_cbranch_execz .LBB23_17
.LBB23_22:
	s_or_b32 s0, s0, exec_lo
	s_trap 2
	s_or_b32 exec_lo, exec_lo, s1
	s_and_b32 exec_lo, exec_lo, s0
	s_cbranch_execnz .LBB23_18
	s_branch .LBB23_19
.LBB23_23:
	s_mov_b32 s0, exec_lo
	s_trap 2
	s_branch .LBB23_21
	.section	.rodata,"a",@progbits
	.p2align	6, 0x0
	.amdhsa_kernel _ZN2at6native12_GLOBAL__N_126nll_loss2d_backward_kernelIN3c108BFloat16EEEvPT_PKS5_PKlS8_S8_biiil
		.amdhsa_group_segment_fixed_size 0
		.amdhsa_private_segment_fixed_size 0
		.amdhsa_kernarg_size 320
		.amdhsa_user_sgpr_count 6
		.amdhsa_user_sgpr_private_segment_buffer 1
		.amdhsa_user_sgpr_dispatch_ptr 0
		.amdhsa_user_sgpr_queue_ptr 0
		.amdhsa_user_sgpr_kernarg_segment_ptr 1
		.amdhsa_user_sgpr_dispatch_id 0
		.amdhsa_user_sgpr_flat_scratch_init 0
		.amdhsa_user_sgpr_private_segment_size 0
		.amdhsa_wavefront_size32 1
		.amdhsa_uses_dynamic_stack 0
		.amdhsa_system_sgpr_private_segment_wavefront_offset 0
		.amdhsa_system_sgpr_workgroup_id_x 1
		.amdhsa_system_sgpr_workgroup_id_y 0
		.amdhsa_system_sgpr_workgroup_id_z 0
		.amdhsa_system_sgpr_workgroup_info 0
		.amdhsa_system_vgpr_workitem_id 0
		.amdhsa_next_free_vgpr 11
		.amdhsa_next_free_sgpr 29
		.amdhsa_reserve_vcc 1
		.amdhsa_reserve_flat_scratch 0
		.amdhsa_float_round_mode_32 0
		.amdhsa_float_round_mode_16_64 0
		.amdhsa_float_denorm_mode_32 3
		.amdhsa_float_denorm_mode_16_64 3
		.amdhsa_dx10_clamp 1
		.amdhsa_ieee_mode 1
		.amdhsa_fp16_overflow 0
		.amdhsa_workgroup_processor_mode 1
		.amdhsa_memory_ordered 1
		.amdhsa_forward_progress 1
		.amdhsa_shared_vgpr_count 0
		.amdhsa_exception_fp_ieee_invalid_op 0
		.amdhsa_exception_fp_denorm_src 0
		.amdhsa_exception_fp_ieee_div_zero 0
		.amdhsa_exception_fp_ieee_overflow 0
		.amdhsa_exception_fp_ieee_underflow 0
		.amdhsa_exception_fp_ieee_inexact 0
		.amdhsa_exception_int_div_zero 0
	.end_amdhsa_kernel
	.section	.text._ZN2at6native12_GLOBAL__N_126nll_loss2d_backward_kernelIN3c108BFloat16EEEvPT_PKS5_PKlS8_S8_biiil,"axG",@progbits,_ZN2at6native12_GLOBAL__N_126nll_loss2d_backward_kernelIN3c108BFloat16EEEvPT_PKS5_PKlS8_S8_biiil,comdat
.Lfunc_end23:
	.size	_ZN2at6native12_GLOBAL__N_126nll_loss2d_backward_kernelIN3c108BFloat16EEEvPT_PKS5_PKlS8_S8_biiil, .Lfunc_end23-_ZN2at6native12_GLOBAL__N_126nll_loss2d_backward_kernelIN3c108BFloat16EEEvPT_PKS5_PKlS8_S8_biiil
                                        ; -- End function
	.set _ZN2at6native12_GLOBAL__N_126nll_loss2d_backward_kernelIN3c108BFloat16EEEvPT_PKS5_PKlS8_S8_biiil.num_vgpr, 11
	.set _ZN2at6native12_GLOBAL__N_126nll_loss2d_backward_kernelIN3c108BFloat16EEEvPT_PKS5_PKlS8_S8_biiil.num_agpr, 0
	.set _ZN2at6native12_GLOBAL__N_126nll_loss2d_backward_kernelIN3c108BFloat16EEEvPT_PKS5_PKlS8_S8_biiil.numbered_sgpr, 29
	.set _ZN2at6native12_GLOBAL__N_126nll_loss2d_backward_kernelIN3c108BFloat16EEEvPT_PKS5_PKlS8_S8_biiil.num_named_barrier, 0
	.set _ZN2at6native12_GLOBAL__N_126nll_loss2d_backward_kernelIN3c108BFloat16EEEvPT_PKS5_PKlS8_S8_biiil.private_seg_size, 0
	.set _ZN2at6native12_GLOBAL__N_126nll_loss2d_backward_kernelIN3c108BFloat16EEEvPT_PKS5_PKlS8_S8_biiil.uses_vcc, 1
	.set _ZN2at6native12_GLOBAL__N_126nll_loss2d_backward_kernelIN3c108BFloat16EEEvPT_PKS5_PKlS8_S8_biiil.uses_flat_scratch, 0
	.set _ZN2at6native12_GLOBAL__N_126nll_loss2d_backward_kernelIN3c108BFloat16EEEvPT_PKS5_PKlS8_S8_biiil.has_dyn_sized_stack, 0
	.set _ZN2at6native12_GLOBAL__N_126nll_loss2d_backward_kernelIN3c108BFloat16EEEvPT_PKS5_PKlS8_S8_biiil.has_recursion, 0
	.set _ZN2at6native12_GLOBAL__N_126nll_loss2d_backward_kernelIN3c108BFloat16EEEvPT_PKS5_PKlS8_S8_biiil.has_indirect_call, 0
	.section	.AMDGPU.csdata,"",@progbits
; Kernel info:
; codeLenInByte = 1020
; TotalNumSgprs: 31
; NumVgprs: 11
; ScratchSize: 0
; MemoryBound: 0
; FloatMode: 240
; IeeeMode: 1
; LDSByteSize: 0 bytes/workgroup (compile time only)
; SGPRBlocks: 0
; VGPRBlocks: 1
; NumSGPRsForWavesPerEU: 31
; NumVGPRsForWavesPerEU: 11
; Occupancy: 16
; WaveLimiterHint : 1
; COMPUTE_PGM_RSRC2:SCRATCH_EN: 0
; COMPUTE_PGM_RSRC2:USER_SGPR: 6
; COMPUTE_PGM_RSRC2:TRAP_HANDLER: 0
; COMPUTE_PGM_RSRC2:TGID_X_EN: 1
; COMPUTE_PGM_RSRC2:TGID_Y_EN: 0
; COMPUTE_PGM_RSRC2:TGID_Z_EN: 0
; COMPUTE_PGM_RSRC2:TIDIG_COMP_CNT: 0
	.section	.AMDGPU.gpr_maximums,"",@progbits
	.set amdgpu.max_num_vgpr, 0
	.set amdgpu.max_num_agpr, 0
	.set amdgpu.max_num_sgpr, 0
	.section	.AMDGPU.csdata,"",@progbits
	.type	__hip_cuid_6e533bcbbafda340,@object ; @__hip_cuid_6e533bcbbafda340
	.section	.bss,"aw",@nobits
	.globl	__hip_cuid_6e533bcbbafda340
__hip_cuid_6e533bcbbafda340:
	.byte	0                               ; 0x0
	.size	__hip_cuid_6e533bcbbafda340, 1

	.ident	"AMD clang version 22.0.0git (https://github.com/RadeonOpenCompute/llvm-project roc-7.2.4 26084 f58b06dce1f9c15707c5f808fd002e18c2accf7e)"
	.section	".note.GNU-stack","",@progbits
	.addrsig
	.addrsig_sym __hip_cuid_6e533bcbbafda340
	.amdgpu_metadata
---
amdhsa.kernels:
  - .args:
      - .offset:         0
        .size:           8
        .value_kind:     by_value
      - .offset:         8
        .size:           72
        .value_kind:     by_value
      - .offset:         80
        .size:           56
        .value_kind:     by_value
      - .offset:         136
        .size:           56
        .value_kind:     by_value
      - .address_space:  global
        .offset:         192
        .size:           8
        .value_kind:     global_buffer
      - .offset:         200
        .size:           8
        .value_kind:     by_value
      - .offset:         208
        .size:           4
        .value_kind:     hidden_block_count_x
      - .offset:         212
        .size:           4
        .value_kind:     hidden_block_count_y
      - .offset:         216
        .size:           4
        .value_kind:     hidden_block_count_z
      - .offset:         220
        .size:           2
        .value_kind:     hidden_group_size_x
      - .offset:         222
        .size:           2
        .value_kind:     hidden_group_size_y
      - .offset:         224
        .size:           2
        .value_kind:     hidden_group_size_z
      - .offset:         226
        .size:           2
        .value_kind:     hidden_remainder_x
      - .offset:         228
        .size:           2
        .value_kind:     hidden_remainder_y
      - .offset:         230
        .size:           2
        .value_kind:     hidden_remainder_z
      - .offset:         248
        .size:           8
        .value_kind:     hidden_global_offset_x
      - .offset:         256
        .size:           8
        .value_kind:     hidden_global_offset_y
      - .offset:         264
        .size:           8
        .value_kind:     hidden_global_offset_z
      - .offset:         272
        .size:           2
        .value_kind:     hidden_grid_dims
    .group_segment_fixed_size: 0
    .kernarg_segment_align: 8
    .kernarg_segment_size: 464
    .language:       OpenCL C
    .language_version:
      - 2
      - 0
    .max_flat_workgroup_size: 1024
    .name:           _ZN2at6native12_GLOBAL__N_135nll_loss2d_forward_no_reduce_kernelIdEEvlN5torch10headeronly6detail27GenericPackedTensorAccessorINS5_14TensorAccessorIN3c108ArrayRefIlEET_Lm3ENS4_16DefaultPtrTraitsElEENS_6detail16IndexBoundsCheckILm4ElEESB_Lm4ESC_lEENS6_INS7_ISA_lLm2ESC_lEENSF_ILm3ElEElLm3ESC_lEENS6_INS7_ISA_SB_Lm2ESC_lEESJ_SB_Lm3ESC_lEEPKSB_l
    .private_segment_fixed_size: 0
    .sgpr_count:     67
    .sgpr_spill_count: 0
    .symbol:         _ZN2at6native12_GLOBAL__N_135nll_loss2d_forward_no_reduce_kernelIdEEvlN5torch10headeronly6detail27GenericPackedTensorAccessorINS5_14TensorAccessorIN3c108ArrayRefIlEET_Lm3ENS4_16DefaultPtrTraitsElEENS_6detail16IndexBoundsCheckILm4ElEESB_Lm4ESC_lEENS6_INS7_ISA_lLm2ESC_lEENSF_ILm3ElEElLm3ESC_lEENS6_INS7_ISA_SB_Lm2ESC_lEESJ_SB_Lm3ESC_lEEPKSB_l.kd
    .uniform_work_group_size: 1
    .uses_dynamic_stack: false
    .vgpr_count:     26
    .vgpr_spill_count: 0
    .wavefront_size: 32
    .workgroup_processor_mode: 1
  - .args:
      - .offset:         0
        .size:           8
        .value_kind:     by_value
      - .offset:         8
        .size:           72
        .value_kind:     by_value
      - .offset:         80
        .size:           56
        .value_kind:     by_value
      - .offset:         136
        .size:           56
        .value_kind:     by_value
      - .address_space:  global
        .offset:         192
        .size:           8
        .value_kind:     global_buffer
      - .offset:         200
        .size:           8
        .value_kind:     by_value
      - .offset:         208
        .size:           4
        .value_kind:     hidden_block_count_x
      - .offset:         212
        .size:           4
        .value_kind:     hidden_block_count_y
      - .offset:         216
        .size:           4
        .value_kind:     hidden_block_count_z
      - .offset:         220
        .size:           2
        .value_kind:     hidden_group_size_x
      - .offset:         222
        .size:           2
        .value_kind:     hidden_group_size_y
      - .offset:         224
        .size:           2
        .value_kind:     hidden_group_size_z
      - .offset:         226
        .size:           2
        .value_kind:     hidden_remainder_x
      - .offset:         228
        .size:           2
        .value_kind:     hidden_remainder_y
      - .offset:         230
        .size:           2
        .value_kind:     hidden_remainder_z
      - .offset:         248
        .size:           8
        .value_kind:     hidden_global_offset_x
      - .offset:         256
        .size:           8
        .value_kind:     hidden_global_offset_y
      - .offset:         264
        .size:           8
        .value_kind:     hidden_global_offset_z
      - .offset:         272
        .size:           2
        .value_kind:     hidden_grid_dims
    .group_segment_fixed_size: 0
    .kernarg_segment_align: 8
    .kernarg_segment_size: 464
    .language:       OpenCL C
    .language_version:
      - 2
      - 0
    .max_flat_workgroup_size: 1024
    .name:           _ZN2at6native12_GLOBAL__N_135nll_loss2d_forward_no_reduce_kernelIfEEvlN5torch10headeronly6detail27GenericPackedTensorAccessorINS5_14TensorAccessorIN3c108ArrayRefIlEET_Lm3ENS4_16DefaultPtrTraitsElEENS_6detail16IndexBoundsCheckILm4ElEESB_Lm4ESC_lEENS6_INS7_ISA_lLm2ESC_lEENSF_ILm3ElEElLm3ESC_lEENS6_INS7_ISA_SB_Lm2ESC_lEESJ_SB_Lm3ESC_lEEPKSB_l
    .private_segment_fixed_size: 0
    .sgpr_count:     67
    .sgpr_spill_count: 0
    .symbol:         _ZN2at6native12_GLOBAL__N_135nll_loss2d_forward_no_reduce_kernelIfEEvlN5torch10headeronly6detail27GenericPackedTensorAccessorINS5_14TensorAccessorIN3c108ArrayRefIlEET_Lm3ENS4_16DefaultPtrTraitsElEENS_6detail16IndexBoundsCheckILm4ElEESB_Lm4ESC_lEENS6_INS7_ISA_lLm2ESC_lEENSF_ILm3ElEElLm3ESC_lEENS6_INS7_ISA_SB_Lm2ESC_lEESJ_SB_Lm3ESC_lEEPKSB_l.kd
    .uniform_work_group_size: 1
    .uses_dynamic_stack: false
    .vgpr_count:     26
    .vgpr_spill_count: 0
    .wavefront_size: 32
    .workgroup_processor_mode: 1
  - .args:
      - .offset:         0
        .size:           8
        .value_kind:     by_value
      - .offset:         8
        .size:           72
        .value_kind:     by_value
      - .offset:         80
        .size:           56
        .value_kind:     by_value
      - .offset:         136
        .size:           56
        .value_kind:     by_value
      - .address_space:  global
        .offset:         192
        .size:           8
        .value_kind:     global_buffer
      - .offset:         200
        .size:           8
        .value_kind:     by_value
      - .offset:         208
        .size:           4
        .value_kind:     hidden_block_count_x
      - .offset:         212
        .size:           4
        .value_kind:     hidden_block_count_y
      - .offset:         216
        .size:           4
        .value_kind:     hidden_block_count_z
      - .offset:         220
        .size:           2
        .value_kind:     hidden_group_size_x
      - .offset:         222
        .size:           2
        .value_kind:     hidden_group_size_y
      - .offset:         224
        .size:           2
        .value_kind:     hidden_group_size_z
      - .offset:         226
        .size:           2
        .value_kind:     hidden_remainder_x
      - .offset:         228
        .size:           2
        .value_kind:     hidden_remainder_y
      - .offset:         230
        .size:           2
        .value_kind:     hidden_remainder_z
      - .offset:         248
        .size:           8
        .value_kind:     hidden_global_offset_x
      - .offset:         256
        .size:           8
        .value_kind:     hidden_global_offset_y
      - .offset:         264
        .size:           8
        .value_kind:     hidden_global_offset_z
      - .offset:         272
        .size:           2
        .value_kind:     hidden_grid_dims
    .group_segment_fixed_size: 0
    .kernarg_segment_align: 8
    .kernarg_segment_size: 464
    .language:       OpenCL C
    .language_version:
      - 2
      - 0
    .max_flat_workgroup_size: 1024
    .name:           _ZN2at6native12_GLOBAL__N_135nll_loss2d_forward_no_reduce_kernelIN3c104HalfEEEvlN5torch10headeronly6detail27GenericPackedTensorAccessorINS7_14TensorAccessorINS3_8ArrayRefIlEET_Lm3ENS6_16DefaultPtrTraitsElEENS_6detail16IndexBoundsCheckILm4ElEESC_Lm4ESD_lEENS8_INS9_ISB_lLm2ESD_lEENSG_ILm3ElEElLm3ESD_lEENS8_INS9_ISB_SC_Lm2ESD_lEESK_SC_Lm3ESD_lEEPKSC_l
    .private_segment_fixed_size: 0
    .sgpr_count:     67
    .sgpr_spill_count: 0
    .symbol:         _ZN2at6native12_GLOBAL__N_135nll_loss2d_forward_no_reduce_kernelIN3c104HalfEEEvlN5torch10headeronly6detail27GenericPackedTensorAccessorINS7_14TensorAccessorINS3_8ArrayRefIlEET_Lm3ENS6_16DefaultPtrTraitsElEENS_6detail16IndexBoundsCheckILm4ElEESC_Lm4ESD_lEENS8_INS9_ISB_lLm2ESD_lEENSG_ILm3ElEElLm3ESD_lEENS8_INS9_ISB_SC_Lm2ESD_lEESK_SC_Lm3ESD_lEEPKSC_l.kd
    .uniform_work_group_size: 1
    .uses_dynamic_stack: false
    .vgpr_count:     26
    .vgpr_spill_count: 0
    .wavefront_size: 32
    .workgroup_processor_mode: 1
  - .args:
      - .offset:         0
        .size:           8
        .value_kind:     by_value
      - .offset:         8
        .size:           72
        .value_kind:     by_value
      - .offset:         80
        .size:           56
        .value_kind:     by_value
      - .offset:         136
        .size:           56
        .value_kind:     by_value
      - .address_space:  global
        .offset:         192
        .size:           8
        .value_kind:     global_buffer
      - .offset:         200
        .size:           8
        .value_kind:     by_value
      - .offset:         208
        .size:           4
        .value_kind:     hidden_block_count_x
      - .offset:         212
        .size:           4
        .value_kind:     hidden_block_count_y
      - .offset:         216
        .size:           4
        .value_kind:     hidden_block_count_z
      - .offset:         220
        .size:           2
        .value_kind:     hidden_group_size_x
      - .offset:         222
        .size:           2
        .value_kind:     hidden_group_size_y
      - .offset:         224
        .size:           2
        .value_kind:     hidden_group_size_z
      - .offset:         226
        .size:           2
        .value_kind:     hidden_remainder_x
      - .offset:         228
        .size:           2
        .value_kind:     hidden_remainder_y
      - .offset:         230
        .size:           2
        .value_kind:     hidden_remainder_z
      - .offset:         248
        .size:           8
        .value_kind:     hidden_global_offset_x
      - .offset:         256
        .size:           8
        .value_kind:     hidden_global_offset_y
      - .offset:         264
        .size:           8
        .value_kind:     hidden_global_offset_z
      - .offset:         272
        .size:           2
        .value_kind:     hidden_grid_dims
    .group_segment_fixed_size: 0
    .kernarg_segment_align: 8
    .kernarg_segment_size: 464
    .language:       OpenCL C
    .language_version:
      - 2
      - 0
    .max_flat_workgroup_size: 1024
    .name:           _ZN2at6native12_GLOBAL__N_135nll_loss2d_forward_no_reduce_kernelIN3c108BFloat16EEEvlN5torch10headeronly6detail27GenericPackedTensorAccessorINS7_14TensorAccessorINS3_8ArrayRefIlEET_Lm3ENS6_16DefaultPtrTraitsElEENS_6detail16IndexBoundsCheckILm4ElEESC_Lm4ESD_lEENS8_INS9_ISB_lLm2ESD_lEENSG_ILm3ElEElLm3ESD_lEENS8_INS9_ISB_SC_Lm2ESD_lEESK_SC_Lm3ESD_lEEPKSC_l
    .private_segment_fixed_size: 0
    .sgpr_count:     67
    .sgpr_spill_count: 0
    .symbol:         _ZN2at6native12_GLOBAL__N_135nll_loss2d_forward_no_reduce_kernelIN3c108BFloat16EEEvlN5torch10headeronly6detail27GenericPackedTensorAccessorINS7_14TensorAccessorINS3_8ArrayRefIlEET_Lm3ENS6_16DefaultPtrTraitsElEENS_6detail16IndexBoundsCheckILm4ElEESC_Lm4ESD_lEENS8_INS9_ISB_lLm2ESD_lEENSG_ILm3ElEElLm3ESD_lEENS8_INS9_ISB_SC_Lm2ESD_lEESK_SC_Lm3ESD_lEEPKSC_l.kd
    .uniform_work_group_size: 1
    .uses_dynamic_stack: false
    .vgpr_count:     27
    .vgpr_spill_count: 0
    .wavefront_size: 32
    .workgroup_processor_mode: 1
  - .args:
      - .address_space:  global
        .offset:         0
        .size:           8
        .value_kind:     global_buffer
      - .address_space:  global
        .offset:         8
        .size:           8
        .value_kind:     global_buffer
      - .address_space:  global
        .offset:         16
        .size:           8
        .value_kind:     global_buffer
      - .address_space:  global
        .offset:         24
        .size:           8
        .value_kind:     global_buffer
      - .address_space:  global
        .offset:         32
        .size:           8
        .value_kind:     global_buffer
      - .offset:         40
        .size:           4
        .value_kind:     by_value
      - .offset:         44
        .size:           4
        .value_kind:     by_value
      - .offset:         48
        .size:           4
        .value_kind:     by_value
      - .offset:         56
        .size:           8
        .value_kind:     by_value
      - .offset:         64
        .size:           4
        .value_kind:     hidden_block_count_x
      - .offset:         68
        .size:           4
        .value_kind:     hidden_block_count_y
      - .offset:         72
        .size:           4
        .value_kind:     hidden_block_count_z
      - .offset:         76
        .size:           2
        .value_kind:     hidden_group_size_x
      - .offset:         78
        .size:           2
        .value_kind:     hidden_group_size_y
      - .offset:         80
        .size:           2
        .value_kind:     hidden_group_size_z
      - .offset:         82
        .size:           2
        .value_kind:     hidden_remainder_x
      - .offset:         84
        .size:           2
        .value_kind:     hidden_remainder_y
      - .offset:         86
        .size:           2
        .value_kind:     hidden_remainder_z
      - .offset:         104
        .size:           8
        .value_kind:     hidden_global_offset_x
      - .offset:         112
        .size:           8
        .value_kind:     hidden_global_offset_y
      - .offset:         120
        .size:           8
        .value_kind:     hidden_global_offset_z
      - .offset:         128
        .size:           2
        .value_kind:     hidden_grid_dims
    .group_segment_fixed_size: 16384
    .kernarg_segment_align: 8
    .kernarg_segment_size: 320
    .language:       OpenCL C
    .language_version:
      - 2
      - 0
    .max_flat_workgroup_size: 1024
    .name:           _ZN2at6native12_GLOBAL__N_125nll_loss2d_forward_kernelIddiEEvPT_S4_PKS3_PKlS6_iiil
    .private_segment_fixed_size: 0
    .sgpr_count:     30
    .sgpr_spill_count: 0
    .symbol:         _ZN2at6native12_GLOBAL__N_125nll_loss2d_forward_kernelIddiEEvPT_S4_PKS3_PKlS6_iiil.kd
    .uniform_work_group_size: 1
    .uses_dynamic_stack: false
    .vgpr_count:     15
    .vgpr_spill_count: 0
    .wavefront_size: 32
    .workgroup_processor_mode: 1
  - .args:
      - .address_space:  global
        .offset:         0
        .size:           8
        .value_kind:     global_buffer
      - .address_space:  global
        .offset:         8
        .size:           8
        .value_kind:     global_buffer
    .group_segment_fixed_size: 0
    .kernarg_segment_align: 8
    .kernarg_segment_size: 16
    .language:       OpenCL C
    .language_version:
      - 2
      - 0
    .max_flat_workgroup_size: 1024
    .name:           _ZN2at6native12_GLOBAL__N_138nll_loss2d_forward_size_average_kernelIdEEvPT_PKS3_
    .private_segment_fixed_size: 0
    .sgpr_count:     8
    .sgpr_spill_count: 0
    .symbol:         _ZN2at6native12_GLOBAL__N_138nll_loss2d_forward_size_average_kernelIdEEvPT_PKS3_.kd
    .uniform_work_group_size: 1
    .uses_dynamic_stack: false
    .vgpr_count:     8
    .vgpr_spill_count: 0
    .wavefront_size: 32
    .workgroup_processor_mode: 1
  - .args:
      - .address_space:  global
        .offset:         0
        .size:           8
        .value_kind:     global_buffer
      - .address_space:  global
        .offset:         8
        .size:           8
        .value_kind:     global_buffer
      - .address_space:  global
        .offset:         16
        .size:           8
        .value_kind:     global_buffer
      - .address_space:  global
        .offset:         24
        .size:           8
        .value_kind:     global_buffer
      - .address_space:  global
        .offset:         32
        .size:           8
        .value_kind:     global_buffer
      - .offset:         40
        .size:           4
        .value_kind:     by_value
      - .offset:         44
        .size:           4
        .value_kind:     by_value
      - .offset:         48
        .size:           4
        .value_kind:     by_value
      - .offset:         56
        .size:           8
        .value_kind:     by_value
      - .offset:         64
        .size:           4
        .value_kind:     hidden_block_count_x
      - .offset:         68
        .size:           4
        .value_kind:     hidden_block_count_y
      - .offset:         72
        .size:           4
        .value_kind:     hidden_block_count_z
      - .offset:         76
        .size:           2
        .value_kind:     hidden_group_size_x
      - .offset:         78
        .size:           2
        .value_kind:     hidden_group_size_y
      - .offset:         80
        .size:           2
        .value_kind:     hidden_group_size_z
      - .offset:         82
        .size:           2
        .value_kind:     hidden_remainder_x
      - .offset:         84
        .size:           2
        .value_kind:     hidden_remainder_y
      - .offset:         86
        .size:           2
        .value_kind:     hidden_remainder_z
      - .offset:         104
        .size:           8
        .value_kind:     hidden_global_offset_x
      - .offset:         112
        .size:           8
        .value_kind:     hidden_global_offset_y
      - .offset:         120
        .size:           8
        .value_kind:     hidden_global_offset_z
      - .offset:         128
        .size:           2
        .value_kind:     hidden_grid_dims
    .group_segment_fixed_size: 16384
    .kernarg_segment_align: 8
    .kernarg_segment_size: 320
    .language:       OpenCL C
    .language_version:
      - 2
      - 0
    .max_flat_workgroup_size: 1024
    .name:           _ZN2at6native12_GLOBAL__N_125nll_loss2d_forward_kernelIddlEEvPT_S4_PKS3_PKlS6_iiil
    .private_segment_fixed_size: 0
    .sgpr_count:     32
    .sgpr_spill_count: 0
    .symbol:         _ZN2at6native12_GLOBAL__N_125nll_loss2d_forward_kernelIddlEEvPT_S4_PKS3_PKlS6_iiil.kd
    .uniform_work_group_size: 1
    .uses_dynamic_stack: false
    .vgpr_count:     16
    .vgpr_spill_count: 0
    .wavefront_size: 32
    .workgroup_processor_mode: 1
  - .args:
      - .address_space:  global
        .offset:         0
        .size:           8
        .value_kind:     global_buffer
      - .address_space:  global
        .offset:         8
        .size:           8
        .value_kind:     global_buffer
      - .address_space:  global
        .offset:         16
        .size:           8
        .value_kind:     global_buffer
      - .address_space:  global
        .offset:         24
        .size:           8
        .value_kind:     global_buffer
      - .address_space:  global
        .offset:         32
        .size:           8
        .value_kind:     global_buffer
      - .offset:         40
        .size:           4
        .value_kind:     by_value
      - .offset:         44
        .size:           4
        .value_kind:     by_value
      - .offset:         48
        .size:           4
        .value_kind:     by_value
      - .offset:         56
        .size:           8
        .value_kind:     by_value
      - .offset:         64
        .size:           4
        .value_kind:     hidden_block_count_x
      - .offset:         68
        .size:           4
        .value_kind:     hidden_block_count_y
      - .offset:         72
        .size:           4
        .value_kind:     hidden_block_count_z
      - .offset:         76
        .size:           2
        .value_kind:     hidden_group_size_x
      - .offset:         78
        .size:           2
        .value_kind:     hidden_group_size_y
      - .offset:         80
        .size:           2
        .value_kind:     hidden_group_size_z
      - .offset:         82
        .size:           2
        .value_kind:     hidden_remainder_x
      - .offset:         84
        .size:           2
        .value_kind:     hidden_remainder_y
      - .offset:         86
        .size:           2
        .value_kind:     hidden_remainder_z
      - .offset:         104
        .size:           8
        .value_kind:     hidden_global_offset_x
      - .offset:         112
        .size:           8
        .value_kind:     hidden_global_offset_y
      - .offset:         120
        .size:           8
        .value_kind:     hidden_global_offset_z
      - .offset:         128
        .size:           2
        .value_kind:     hidden_grid_dims
    .group_segment_fixed_size: 8192
    .kernarg_segment_align: 8
    .kernarg_segment_size: 320
    .language:       OpenCL C
    .language_version:
      - 2
      - 0
    .max_flat_workgroup_size: 1024
    .name:           _ZN2at6native12_GLOBAL__N_125nll_loss2d_forward_kernelIffiEEvPT_S4_PKS3_PKlS6_iiil
    .private_segment_fixed_size: 0
    .sgpr_count:     30
    .sgpr_spill_count: 0
    .symbol:         _ZN2at6native12_GLOBAL__N_125nll_loss2d_forward_kernelIffiEEvPT_S4_PKS3_PKlS6_iiil.kd
    .uniform_work_group_size: 1
    .uses_dynamic_stack: false
    .vgpr_count:     12
    .vgpr_spill_count: 0
    .wavefront_size: 32
    .workgroup_processor_mode: 1
  - .args:
      - .address_space:  global
        .offset:         0
        .size:           8
        .value_kind:     global_buffer
      - .address_space:  global
        .offset:         8
        .size:           8
        .value_kind:     global_buffer
    .group_segment_fixed_size: 0
    .kernarg_segment_align: 8
    .kernarg_segment_size: 16
    .language:       OpenCL C
    .language_version:
      - 2
      - 0
    .max_flat_workgroup_size: 1024
    .name:           _ZN2at6native12_GLOBAL__N_138nll_loss2d_forward_size_average_kernelIfEEvPT_PKS3_
    .private_segment_fixed_size: 0
    .sgpr_count:     8
    .sgpr_spill_count: 0
    .symbol:         _ZN2at6native12_GLOBAL__N_138nll_loss2d_forward_size_average_kernelIfEEvPT_PKS3_.kd
    .uniform_work_group_size: 1
    .uses_dynamic_stack: false
    .vgpr_count:     5
    .vgpr_spill_count: 0
    .wavefront_size: 32
    .workgroup_processor_mode: 1
  - .args:
      - .address_space:  global
        .offset:         0
        .size:           8
        .value_kind:     global_buffer
      - .address_space:  global
        .offset:         8
        .size:           8
        .value_kind:     global_buffer
      - .address_space:  global
        .offset:         16
        .size:           8
        .value_kind:     global_buffer
      - .address_space:  global
        .offset:         24
        .size:           8
        .value_kind:     global_buffer
      - .address_space:  global
        .offset:         32
        .size:           8
        .value_kind:     global_buffer
      - .offset:         40
        .size:           4
        .value_kind:     by_value
      - .offset:         44
        .size:           4
        .value_kind:     by_value
      - .offset:         48
        .size:           4
        .value_kind:     by_value
      - .offset:         56
        .size:           8
        .value_kind:     by_value
      - .offset:         64
        .size:           4
        .value_kind:     hidden_block_count_x
      - .offset:         68
        .size:           4
        .value_kind:     hidden_block_count_y
      - .offset:         72
        .size:           4
        .value_kind:     hidden_block_count_z
      - .offset:         76
        .size:           2
        .value_kind:     hidden_group_size_x
      - .offset:         78
        .size:           2
        .value_kind:     hidden_group_size_y
      - .offset:         80
        .size:           2
        .value_kind:     hidden_group_size_z
      - .offset:         82
        .size:           2
        .value_kind:     hidden_remainder_x
      - .offset:         84
        .size:           2
        .value_kind:     hidden_remainder_y
      - .offset:         86
        .size:           2
        .value_kind:     hidden_remainder_z
      - .offset:         104
        .size:           8
        .value_kind:     hidden_global_offset_x
      - .offset:         112
        .size:           8
        .value_kind:     hidden_global_offset_y
      - .offset:         120
        .size:           8
        .value_kind:     hidden_global_offset_z
      - .offset:         128
        .size:           2
        .value_kind:     hidden_grid_dims
    .group_segment_fixed_size: 8192
    .kernarg_segment_align: 8
    .kernarg_segment_size: 320
    .language:       OpenCL C
    .language_version:
      - 2
      - 0
    .max_flat_workgroup_size: 1024
    .name:           _ZN2at6native12_GLOBAL__N_125nll_loss2d_forward_kernelIfflEEvPT_S4_PKS3_PKlS6_iiil
    .private_segment_fixed_size: 0
    .sgpr_count:     32
    .sgpr_spill_count: 0
    .symbol:         _ZN2at6native12_GLOBAL__N_125nll_loss2d_forward_kernelIfflEEvPT_S4_PKS3_PKlS6_iiil.kd
    .uniform_work_group_size: 1
    .uses_dynamic_stack: false
    .vgpr_count:     13
    .vgpr_spill_count: 0
    .wavefront_size: 32
    .workgroup_processor_mode: 1
  - .args:
      - .address_space:  global
        .offset:         0
        .size:           8
        .value_kind:     global_buffer
      - .address_space:  global
        .offset:         8
        .size:           8
        .value_kind:     global_buffer
      - .address_space:  global
        .offset:         16
        .size:           8
        .value_kind:     global_buffer
      - .address_space:  global
        .offset:         24
        .size:           8
        .value_kind:     global_buffer
      - .address_space:  global
        .offset:         32
        .size:           8
        .value_kind:     global_buffer
      - .offset:         40
        .size:           4
        .value_kind:     by_value
      - .offset:         44
        .size:           4
        .value_kind:     by_value
      - .offset:         48
        .size:           4
        .value_kind:     by_value
      - .offset:         56
        .size:           8
        .value_kind:     by_value
      - .offset:         64
        .size:           4
        .value_kind:     hidden_block_count_x
      - .offset:         68
        .size:           4
        .value_kind:     hidden_block_count_y
      - .offset:         72
        .size:           4
        .value_kind:     hidden_block_count_z
      - .offset:         76
        .size:           2
        .value_kind:     hidden_group_size_x
      - .offset:         78
        .size:           2
        .value_kind:     hidden_group_size_y
      - .offset:         80
        .size:           2
        .value_kind:     hidden_group_size_z
      - .offset:         82
        .size:           2
        .value_kind:     hidden_remainder_x
      - .offset:         84
        .size:           2
        .value_kind:     hidden_remainder_y
      - .offset:         86
        .size:           2
        .value_kind:     hidden_remainder_z
      - .offset:         104
        .size:           8
        .value_kind:     hidden_global_offset_x
      - .offset:         112
        .size:           8
        .value_kind:     hidden_global_offset_y
      - .offset:         120
        .size:           8
        .value_kind:     hidden_global_offset_z
      - .offset:         128
        .size:           2
        .value_kind:     hidden_grid_dims
    .group_segment_fixed_size: 8192
    .kernarg_segment_align: 8
    .kernarg_segment_size: 320
    .language:       OpenCL C
    .language_version:
      - 2
      - 0
    .max_flat_workgroup_size: 1024
    .name:           _ZN2at6native12_GLOBAL__N_125nll_loss2d_forward_kernelIN3c104HalfEfiEEvPT_S6_PKS5_PKlS8_iiil
    .private_segment_fixed_size: 0
    .sgpr_count:     30
    .sgpr_spill_count: 0
    .symbol:         _ZN2at6native12_GLOBAL__N_125nll_loss2d_forward_kernelIN3c104HalfEfiEEvPT_S6_PKS5_PKlS8_iiil.kd
    .uniform_work_group_size: 1
    .uses_dynamic_stack: false
    .vgpr_count:     12
    .vgpr_spill_count: 0
    .wavefront_size: 32
    .workgroup_processor_mode: 1
  - .args:
      - .address_space:  global
        .offset:         0
        .size:           8
        .value_kind:     global_buffer
      - .address_space:  global
        .offset:         8
        .size:           8
        .value_kind:     global_buffer
    .group_segment_fixed_size: 0
    .kernarg_segment_align: 8
    .kernarg_segment_size: 16
    .language:       OpenCL C
    .language_version:
      - 2
      - 0
    .max_flat_workgroup_size: 1024
    .name:           _ZN2at6native12_GLOBAL__N_138nll_loss2d_forward_size_average_kernelIN3c104HalfEEEvPT_PKS5_
    .private_segment_fixed_size: 0
    .sgpr_count:     6
    .sgpr_spill_count: 0
    .symbol:         _ZN2at6native12_GLOBAL__N_138nll_loss2d_forward_size_average_kernelIN3c104HalfEEEvPT_PKS5_.kd
    .uniform_work_group_size: 1
    .uses_dynamic_stack: false
    .vgpr_count:     6
    .vgpr_spill_count: 0
    .wavefront_size: 32
    .workgroup_processor_mode: 1
  - .args:
      - .address_space:  global
        .offset:         0
        .size:           8
        .value_kind:     global_buffer
      - .address_space:  global
        .offset:         8
        .size:           8
        .value_kind:     global_buffer
      - .address_space:  global
        .offset:         16
        .size:           8
        .value_kind:     global_buffer
      - .address_space:  global
        .offset:         24
        .size:           8
        .value_kind:     global_buffer
      - .address_space:  global
        .offset:         32
        .size:           8
        .value_kind:     global_buffer
      - .offset:         40
        .size:           4
        .value_kind:     by_value
      - .offset:         44
        .size:           4
        .value_kind:     by_value
      - .offset:         48
        .size:           4
        .value_kind:     by_value
      - .offset:         56
        .size:           8
        .value_kind:     by_value
      - .offset:         64
        .size:           4
        .value_kind:     hidden_block_count_x
      - .offset:         68
        .size:           4
        .value_kind:     hidden_block_count_y
      - .offset:         72
        .size:           4
        .value_kind:     hidden_block_count_z
      - .offset:         76
        .size:           2
        .value_kind:     hidden_group_size_x
      - .offset:         78
        .size:           2
        .value_kind:     hidden_group_size_y
      - .offset:         80
        .size:           2
        .value_kind:     hidden_group_size_z
      - .offset:         82
        .size:           2
        .value_kind:     hidden_remainder_x
      - .offset:         84
        .size:           2
        .value_kind:     hidden_remainder_y
      - .offset:         86
        .size:           2
        .value_kind:     hidden_remainder_z
      - .offset:         104
        .size:           8
        .value_kind:     hidden_global_offset_x
      - .offset:         112
        .size:           8
        .value_kind:     hidden_global_offset_y
      - .offset:         120
        .size:           8
        .value_kind:     hidden_global_offset_z
      - .offset:         128
        .size:           2
        .value_kind:     hidden_grid_dims
    .group_segment_fixed_size: 8192
    .kernarg_segment_align: 8
    .kernarg_segment_size: 320
    .language:       OpenCL C
    .language_version:
      - 2
      - 0
    .max_flat_workgroup_size: 1024
    .name:           _ZN2at6native12_GLOBAL__N_125nll_loss2d_forward_kernelIN3c104HalfEflEEvPT_S6_PKS5_PKlS8_iiil
    .private_segment_fixed_size: 0
    .sgpr_count:     32
    .sgpr_spill_count: 0
    .symbol:         _ZN2at6native12_GLOBAL__N_125nll_loss2d_forward_kernelIN3c104HalfEflEEvPT_S6_PKS5_PKlS8_iiil.kd
    .uniform_work_group_size: 1
    .uses_dynamic_stack: false
    .vgpr_count:     13
    .vgpr_spill_count: 0
    .wavefront_size: 32
    .workgroup_processor_mode: 1
  - .args:
      - .address_space:  global
        .offset:         0
        .size:           8
        .value_kind:     global_buffer
      - .address_space:  global
        .offset:         8
        .size:           8
        .value_kind:     global_buffer
      - .address_space:  global
        .offset:         16
        .size:           8
        .value_kind:     global_buffer
      - .address_space:  global
        .offset:         24
        .size:           8
        .value_kind:     global_buffer
      - .address_space:  global
        .offset:         32
        .size:           8
        .value_kind:     global_buffer
      - .offset:         40
        .size:           4
        .value_kind:     by_value
      - .offset:         44
        .size:           4
        .value_kind:     by_value
      - .offset:         48
        .size:           4
        .value_kind:     by_value
      - .offset:         56
        .size:           8
        .value_kind:     by_value
      - .offset:         64
        .size:           4
        .value_kind:     hidden_block_count_x
      - .offset:         68
        .size:           4
        .value_kind:     hidden_block_count_y
      - .offset:         72
        .size:           4
        .value_kind:     hidden_block_count_z
      - .offset:         76
        .size:           2
        .value_kind:     hidden_group_size_x
      - .offset:         78
        .size:           2
        .value_kind:     hidden_group_size_y
      - .offset:         80
        .size:           2
        .value_kind:     hidden_group_size_z
      - .offset:         82
        .size:           2
        .value_kind:     hidden_remainder_x
      - .offset:         84
        .size:           2
        .value_kind:     hidden_remainder_y
      - .offset:         86
        .size:           2
        .value_kind:     hidden_remainder_z
      - .offset:         104
        .size:           8
        .value_kind:     hidden_global_offset_x
      - .offset:         112
        .size:           8
        .value_kind:     hidden_global_offset_y
      - .offset:         120
        .size:           8
        .value_kind:     hidden_global_offset_z
      - .offset:         128
        .size:           2
        .value_kind:     hidden_grid_dims
    .group_segment_fixed_size: 8192
    .kernarg_segment_align: 8
    .kernarg_segment_size: 320
    .language:       OpenCL C
    .language_version:
      - 2
      - 0
    .max_flat_workgroup_size: 1024
    .name:           _ZN2at6native12_GLOBAL__N_125nll_loss2d_forward_kernelIN3c108BFloat16EfiEEvPT_S6_PKS5_PKlS8_iiil
    .private_segment_fixed_size: 0
    .sgpr_count:     30
    .sgpr_spill_count: 0
    .symbol:         _ZN2at6native12_GLOBAL__N_125nll_loss2d_forward_kernelIN3c108BFloat16EfiEEvPT_S6_PKS5_PKlS8_iiil.kd
    .uniform_work_group_size: 1
    .uses_dynamic_stack: false
    .vgpr_count:     12
    .vgpr_spill_count: 0
    .wavefront_size: 32
    .workgroup_processor_mode: 1
  - .args:
      - .address_space:  global
        .offset:         0
        .size:           8
        .value_kind:     global_buffer
      - .address_space:  global
        .offset:         8
        .size:           8
        .value_kind:     global_buffer
    .group_segment_fixed_size: 0
    .kernarg_segment_align: 8
    .kernarg_segment_size: 16
    .language:       OpenCL C
    .language_version:
      - 2
      - 0
    .max_flat_workgroup_size: 1024
    .name:           _ZN2at6native12_GLOBAL__N_138nll_loss2d_forward_size_average_kernelIN3c108BFloat16EEEvPT_PKS5_
    .private_segment_fixed_size: 0
    .sgpr_count:     8
    .sgpr_spill_count: 0
    .symbol:         _ZN2at6native12_GLOBAL__N_138nll_loss2d_forward_size_average_kernelIN3c108BFloat16EEEvPT_PKS5_.kd
    .uniform_work_group_size: 1
    .uses_dynamic_stack: false
    .vgpr_count:     8
    .vgpr_spill_count: 0
    .wavefront_size: 32
    .workgroup_processor_mode: 1
  - .args:
      - .address_space:  global
        .offset:         0
        .size:           8
        .value_kind:     global_buffer
      - .address_space:  global
        .offset:         8
        .size:           8
        .value_kind:     global_buffer
      - .address_space:  global
        .offset:         16
        .size:           8
        .value_kind:     global_buffer
      - .address_space:  global
        .offset:         24
        .size:           8
        .value_kind:     global_buffer
      - .address_space:  global
        .offset:         32
        .size:           8
        .value_kind:     global_buffer
      - .offset:         40
        .size:           4
        .value_kind:     by_value
      - .offset:         44
        .size:           4
        .value_kind:     by_value
      - .offset:         48
        .size:           4
        .value_kind:     by_value
      - .offset:         56
        .size:           8
        .value_kind:     by_value
      - .offset:         64
        .size:           4
        .value_kind:     hidden_block_count_x
      - .offset:         68
        .size:           4
        .value_kind:     hidden_block_count_y
      - .offset:         72
        .size:           4
        .value_kind:     hidden_block_count_z
      - .offset:         76
        .size:           2
        .value_kind:     hidden_group_size_x
      - .offset:         78
        .size:           2
        .value_kind:     hidden_group_size_y
      - .offset:         80
        .size:           2
        .value_kind:     hidden_group_size_z
      - .offset:         82
        .size:           2
        .value_kind:     hidden_remainder_x
      - .offset:         84
        .size:           2
        .value_kind:     hidden_remainder_y
      - .offset:         86
        .size:           2
        .value_kind:     hidden_remainder_z
      - .offset:         104
        .size:           8
        .value_kind:     hidden_global_offset_x
      - .offset:         112
        .size:           8
        .value_kind:     hidden_global_offset_y
      - .offset:         120
        .size:           8
        .value_kind:     hidden_global_offset_z
      - .offset:         128
        .size:           2
        .value_kind:     hidden_grid_dims
    .group_segment_fixed_size: 8192
    .kernarg_segment_align: 8
    .kernarg_segment_size: 320
    .language:       OpenCL C
    .language_version:
      - 2
      - 0
    .max_flat_workgroup_size: 1024
    .name:           _ZN2at6native12_GLOBAL__N_125nll_loss2d_forward_kernelIN3c108BFloat16EflEEvPT_S6_PKS5_PKlS8_iiil
    .private_segment_fixed_size: 0
    .sgpr_count:     32
    .sgpr_spill_count: 0
    .symbol:         _ZN2at6native12_GLOBAL__N_125nll_loss2d_forward_kernelIN3c108BFloat16EflEEvPT_S6_PKS5_PKlS8_iiil.kd
    .uniform_work_group_size: 1
    .uses_dynamic_stack: false
    .vgpr_count:     13
    .vgpr_spill_count: 0
    .wavefront_size: 32
    .workgroup_processor_mode: 1
  - .args:
      - .offset:         0
        .size:           8
        .value_kind:     by_value
      - .offset:         8
        .size:           56
        .value_kind:     by_value
      - .offset:         64
        .size:           56
        .value_kind:     by_value
      - .offset:         120
        .size:           72
        .value_kind:     by_value
      - .address_space:  global
        .offset:         192
        .size:           8
        .value_kind:     global_buffer
      - .offset:         200
        .size:           8
        .value_kind:     by_value
      - .offset:         208
        .size:           4
        .value_kind:     hidden_block_count_x
      - .offset:         212
        .size:           4
        .value_kind:     hidden_block_count_y
      - .offset:         216
        .size:           4
        .value_kind:     hidden_block_count_z
      - .offset:         220
        .size:           2
        .value_kind:     hidden_group_size_x
      - .offset:         222
        .size:           2
        .value_kind:     hidden_group_size_y
      - .offset:         224
        .size:           2
        .value_kind:     hidden_group_size_z
      - .offset:         226
        .size:           2
        .value_kind:     hidden_remainder_x
      - .offset:         228
        .size:           2
        .value_kind:     hidden_remainder_y
      - .offset:         230
        .size:           2
        .value_kind:     hidden_remainder_z
      - .offset:         248
        .size:           8
        .value_kind:     hidden_global_offset_x
      - .offset:         256
        .size:           8
        .value_kind:     hidden_global_offset_y
      - .offset:         264
        .size:           8
        .value_kind:     hidden_global_offset_z
      - .offset:         272
        .size:           2
        .value_kind:     hidden_grid_dims
    .group_segment_fixed_size: 0
    .kernarg_segment_align: 8
    .kernarg_segment_size: 464
    .language:       OpenCL C
    .language_version:
      - 2
      - 0
    .max_flat_workgroup_size: 1024
    .name:           _ZN2at6native12_GLOBAL__N_136nll_loss2d_backward_no_reduce_kernelIdEEvlN5torch10headeronly6detail27GenericPackedTensorAccessorINS5_14TensorAccessorIN3c108ArrayRefIlEElLm2ENS4_16DefaultPtrTraitsElEENS_6detail16IndexBoundsCheckILm3ElEElLm3ESB_lEENS6_INS7_ISA_T_Lm2ESB_lEESF_SH_Lm3ESB_lEENS6_INS7_ISA_SH_Lm3ESB_lEENSE_ILm4ElEESH_Lm4ESB_lEEPKSH_l
    .private_segment_fixed_size: 0
    .sgpr_count:     67
    .sgpr_spill_count: 0
    .symbol:         _ZN2at6native12_GLOBAL__N_136nll_loss2d_backward_no_reduce_kernelIdEEvlN5torch10headeronly6detail27GenericPackedTensorAccessorINS5_14TensorAccessorIN3c108ArrayRefIlEElLm2ENS4_16DefaultPtrTraitsElEENS_6detail16IndexBoundsCheckILm3ElEElLm3ESB_lEENS6_INS7_ISA_T_Lm2ESB_lEESF_SH_Lm3ESB_lEENS6_INS7_ISA_SH_Lm3ESB_lEENSE_ILm4ElEESH_Lm4ESB_lEEPKSH_l.kd
    .uniform_work_group_size: 1
    .uses_dynamic_stack: false
    .vgpr_count:     26
    .vgpr_spill_count: 0
    .wavefront_size: 32
    .workgroup_processor_mode: 1
  - .args:
      - .offset:         0
        .size:           8
        .value_kind:     by_value
      - .offset:         8
        .size:           56
        .value_kind:     by_value
      - .offset:         64
        .size:           56
        .value_kind:     by_value
      - .offset:         120
        .size:           72
        .value_kind:     by_value
      - .address_space:  global
        .offset:         192
        .size:           8
        .value_kind:     global_buffer
      - .offset:         200
        .size:           8
        .value_kind:     by_value
      - .offset:         208
        .size:           4
        .value_kind:     hidden_block_count_x
      - .offset:         212
        .size:           4
        .value_kind:     hidden_block_count_y
      - .offset:         216
        .size:           4
        .value_kind:     hidden_block_count_z
      - .offset:         220
        .size:           2
        .value_kind:     hidden_group_size_x
      - .offset:         222
        .size:           2
        .value_kind:     hidden_group_size_y
      - .offset:         224
        .size:           2
        .value_kind:     hidden_group_size_z
      - .offset:         226
        .size:           2
        .value_kind:     hidden_remainder_x
      - .offset:         228
        .size:           2
        .value_kind:     hidden_remainder_y
      - .offset:         230
        .size:           2
        .value_kind:     hidden_remainder_z
      - .offset:         248
        .size:           8
        .value_kind:     hidden_global_offset_x
      - .offset:         256
        .size:           8
        .value_kind:     hidden_global_offset_y
      - .offset:         264
        .size:           8
        .value_kind:     hidden_global_offset_z
      - .offset:         272
        .size:           2
        .value_kind:     hidden_grid_dims
    .group_segment_fixed_size: 0
    .kernarg_segment_align: 8
    .kernarg_segment_size: 464
    .language:       OpenCL C
    .language_version:
      - 2
      - 0
    .max_flat_workgroup_size: 1024
    .name:           _ZN2at6native12_GLOBAL__N_136nll_loss2d_backward_no_reduce_kernelIfEEvlN5torch10headeronly6detail27GenericPackedTensorAccessorINS5_14TensorAccessorIN3c108ArrayRefIlEElLm2ENS4_16DefaultPtrTraitsElEENS_6detail16IndexBoundsCheckILm3ElEElLm3ESB_lEENS6_INS7_ISA_T_Lm2ESB_lEESF_SH_Lm3ESB_lEENS6_INS7_ISA_SH_Lm3ESB_lEENSE_ILm4ElEESH_Lm4ESB_lEEPKSH_l
    .private_segment_fixed_size: 0
    .sgpr_count:     67
    .sgpr_spill_count: 0
    .symbol:         _ZN2at6native12_GLOBAL__N_136nll_loss2d_backward_no_reduce_kernelIfEEvlN5torch10headeronly6detail27GenericPackedTensorAccessorINS5_14TensorAccessorIN3c108ArrayRefIlEElLm2ENS4_16DefaultPtrTraitsElEENS_6detail16IndexBoundsCheckILm3ElEElLm3ESB_lEENS6_INS7_ISA_T_Lm2ESB_lEESF_SH_Lm3ESB_lEENS6_INS7_ISA_SH_Lm3ESB_lEENSE_ILm4ElEESH_Lm4ESB_lEEPKSH_l.kd
    .uniform_work_group_size: 1
    .uses_dynamic_stack: false
    .vgpr_count:     25
    .vgpr_spill_count: 0
    .wavefront_size: 32
    .workgroup_processor_mode: 1
  - .args:
      - .offset:         0
        .size:           8
        .value_kind:     by_value
      - .offset:         8
        .size:           56
        .value_kind:     by_value
      - .offset:         64
        .size:           56
        .value_kind:     by_value
      - .offset:         120
        .size:           72
        .value_kind:     by_value
      - .address_space:  global
        .offset:         192
        .size:           8
        .value_kind:     global_buffer
      - .offset:         200
        .size:           8
        .value_kind:     by_value
      - .offset:         208
        .size:           4
        .value_kind:     hidden_block_count_x
      - .offset:         212
        .size:           4
        .value_kind:     hidden_block_count_y
      - .offset:         216
        .size:           4
        .value_kind:     hidden_block_count_z
      - .offset:         220
        .size:           2
        .value_kind:     hidden_group_size_x
      - .offset:         222
        .size:           2
        .value_kind:     hidden_group_size_y
      - .offset:         224
        .size:           2
        .value_kind:     hidden_group_size_z
      - .offset:         226
        .size:           2
        .value_kind:     hidden_remainder_x
      - .offset:         228
        .size:           2
        .value_kind:     hidden_remainder_y
      - .offset:         230
        .size:           2
        .value_kind:     hidden_remainder_z
      - .offset:         248
        .size:           8
        .value_kind:     hidden_global_offset_x
      - .offset:         256
        .size:           8
        .value_kind:     hidden_global_offset_y
      - .offset:         264
        .size:           8
        .value_kind:     hidden_global_offset_z
      - .offset:         272
        .size:           2
        .value_kind:     hidden_grid_dims
    .group_segment_fixed_size: 0
    .kernarg_segment_align: 8
    .kernarg_segment_size: 464
    .language:       OpenCL C
    .language_version:
      - 2
      - 0
    .max_flat_workgroup_size: 1024
    .name:           _ZN2at6native12_GLOBAL__N_136nll_loss2d_backward_no_reduce_kernelIN3c104HalfEEEvlN5torch10headeronly6detail27GenericPackedTensorAccessorINS7_14TensorAccessorINS3_8ArrayRefIlEElLm2ENS6_16DefaultPtrTraitsElEENS_6detail16IndexBoundsCheckILm3ElEElLm3ESC_lEENS8_INS9_ISB_T_Lm2ESC_lEESG_SI_Lm3ESC_lEENS8_INS9_ISB_SI_Lm3ESC_lEENSF_ILm4ElEESI_Lm4ESC_lEEPKSI_l
    .private_segment_fixed_size: 0
    .sgpr_count:     67
    .sgpr_spill_count: 0
    .symbol:         _ZN2at6native12_GLOBAL__N_136nll_loss2d_backward_no_reduce_kernelIN3c104HalfEEEvlN5torch10headeronly6detail27GenericPackedTensorAccessorINS7_14TensorAccessorINS3_8ArrayRefIlEElLm2ENS6_16DefaultPtrTraitsElEENS_6detail16IndexBoundsCheckILm3ElEElLm3ESC_lEENS8_INS9_ISB_T_Lm2ESC_lEESG_SI_Lm3ESC_lEENS8_INS9_ISB_SI_Lm3ESC_lEENSF_ILm4ElEESI_Lm4ESC_lEEPKSI_l.kd
    .uniform_work_group_size: 1
    .uses_dynamic_stack: false
    .vgpr_count:     25
    .vgpr_spill_count: 0
    .wavefront_size: 32
    .workgroup_processor_mode: 1
  - .args:
      - .offset:         0
        .size:           8
        .value_kind:     by_value
      - .offset:         8
        .size:           56
        .value_kind:     by_value
      - .offset:         64
        .size:           56
        .value_kind:     by_value
      - .offset:         120
        .size:           72
        .value_kind:     by_value
      - .address_space:  global
        .offset:         192
        .size:           8
        .value_kind:     global_buffer
      - .offset:         200
        .size:           8
        .value_kind:     by_value
      - .offset:         208
        .size:           4
        .value_kind:     hidden_block_count_x
      - .offset:         212
        .size:           4
        .value_kind:     hidden_block_count_y
      - .offset:         216
        .size:           4
        .value_kind:     hidden_block_count_z
      - .offset:         220
        .size:           2
        .value_kind:     hidden_group_size_x
      - .offset:         222
        .size:           2
        .value_kind:     hidden_group_size_y
      - .offset:         224
        .size:           2
        .value_kind:     hidden_group_size_z
      - .offset:         226
        .size:           2
        .value_kind:     hidden_remainder_x
      - .offset:         228
        .size:           2
        .value_kind:     hidden_remainder_y
      - .offset:         230
        .size:           2
        .value_kind:     hidden_remainder_z
      - .offset:         248
        .size:           8
        .value_kind:     hidden_global_offset_x
      - .offset:         256
        .size:           8
        .value_kind:     hidden_global_offset_y
      - .offset:         264
        .size:           8
        .value_kind:     hidden_global_offset_z
      - .offset:         272
        .size:           2
        .value_kind:     hidden_grid_dims
    .group_segment_fixed_size: 0
    .kernarg_segment_align: 8
    .kernarg_segment_size: 464
    .language:       OpenCL C
    .language_version:
      - 2
      - 0
    .max_flat_workgroup_size: 1024
    .name:           _ZN2at6native12_GLOBAL__N_136nll_loss2d_backward_no_reduce_kernelIN3c108BFloat16EEEvlN5torch10headeronly6detail27GenericPackedTensorAccessorINS7_14TensorAccessorINS3_8ArrayRefIlEElLm2ENS6_16DefaultPtrTraitsElEENS_6detail16IndexBoundsCheckILm3ElEElLm3ESC_lEENS8_INS9_ISB_T_Lm2ESC_lEESG_SI_Lm3ESC_lEENS8_INS9_ISB_SI_Lm3ESC_lEENSF_ILm4ElEESI_Lm4ESC_lEEPKSI_l
    .private_segment_fixed_size: 0
    .sgpr_count:     67
    .sgpr_spill_count: 0
    .symbol:         _ZN2at6native12_GLOBAL__N_136nll_loss2d_backward_no_reduce_kernelIN3c108BFloat16EEEvlN5torch10headeronly6detail27GenericPackedTensorAccessorINS7_14TensorAccessorINS3_8ArrayRefIlEElLm2ENS6_16DefaultPtrTraitsElEENS_6detail16IndexBoundsCheckILm3ElEElLm3ESC_lEENS8_INS9_ISB_T_Lm2ESC_lEESG_SI_Lm3ESC_lEENS8_INS9_ISB_SI_Lm3ESC_lEENSF_ILm4ElEESI_Lm4ESC_lEEPKSI_l.kd
    .uniform_work_group_size: 1
    .uses_dynamic_stack: false
    .vgpr_count:     25
    .vgpr_spill_count: 0
    .wavefront_size: 32
    .workgroup_processor_mode: 1
  - .args:
      - .address_space:  global
        .offset:         0
        .size:           8
        .value_kind:     global_buffer
      - .address_space:  global
        .offset:         8
        .size:           8
        .value_kind:     global_buffer
      - .address_space:  global
        .offset:         16
        .size:           8
        .value_kind:     global_buffer
      - .address_space:  global
        .offset:         24
        .size:           8
        .value_kind:     global_buffer
      - .address_space:  global
        .offset:         32
        .size:           8
        .value_kind:     global_buffer
      - .offset:         40
        .size:           1
        .value_kind:     by_value
      - .offset:         44
        .size:           4
        .value_kind:     by_value
      - .offset:         48
        .size:           4
        .value_kind:     by_value
      - .offset:         52
        .size:           4
        .value_kind:     by_value
      - .offset:         56
        .size:           8
        .value_kind:     by_value
      - .offset:         64
        .size:           4
        .value_kind:     hidden_block_count_x
      - .offset:         68
        .size:           4
        .value_kind:     hidden_block_count_y
      - .offset:         72
        .size:           4
        .value_kind:     hidden_block_count_z
      - .offset:         76
        .size:           2
        .value_kind:     hidden_group_size_x
      - .offset:         78
        .size:           2
        .value_kind:     hidden_group_size_y
      - .offset:         80
        .size:           2
        .value_kind:     hidden_group_size_z
      - .offset:         82
        .size:           2
        .value_kind:     hidden_remainder_x
      - .offset:         84
        .size:           2
        .value_kind:     hidden_remainder_y
      - .offset:         86
        .size:           2
        .value_kind:     hidden_remainder_z
      - .offset:         104
        .size:           8
        .value_kind:     hidden_global_offset_x
      - .offset:         112
        .size:           8
        .value_kind:     hidden_global_offset_y
      - .offset:         120
        .size:           8
        .value_kind:     hidden_global_offset_z
      - .offset:         128
        .size:           2
        .value_kind:     hidden_grid_dims
    .group_segment_fixed_size: 0
    .kernarg_segment_align: 8
    .kernarg_segment_size: 320
    .language:       OpenCL C
    .language_version:
      - 2
      - 0
    .max_flat_workgroup_size: 1024
    .name:           _ZN2at6native12_GLOBAL__N_126nll_loss2d_backward_kernelIdEEvPT_PKS3_PKlS6_S6_biiil
    .private_segment_fixed_size: 0
    .sgpr_count:     29
    .sgpr_spill_count: 0
    .symbol:         _ZN2at6native12_GLOBAL__N_126nll_loss2d_backward_kernelIdEEvPT_PKS3_PKlS6_S6_biiil.kd
    .uniform_work_group_size: 1
    .uses_dynamic_stack: false
    .vgpr_count:     15
    .vgpr_spill_count: 0
    .wavefront_size: 32
    .workgroup_processor_mode: 1
  - .args:
      - .address_space:  global
        .offset:         0
        .size:           8
        .value_kind:     global_buffer
      - .address_space:  global
        .offset:         8
        .size:           8
        .value_kind:     global_buffer
      - .address_space:  global
        .offset:         16
        .size:           8
        .value_kind:     global_buffer
      - .address_space:  global
        .offset:         24
        .size:           8
        .value_kind:     global_buffer
      - .address_space:  global
        .offset:         32
        .size:           8
        .value_kind:     global_buffer
      - .offset:         40
        .size:           1
        .value_kind:     by_value
      - .offset:         44
        .size:           4
        .value_kind:     by_value
      - .offset:         48
        .size:           4
        .value_kind:     by_value
      - .offset:         52
        .size:           4
        .value_kind:     by_value
      - .offset:         56
        .size:           8
        .value_kind:     by_value
      - .offset:         64
        .size:           4
        .value_kind:     hidden_block_count_x
      - .offset:         68
        .size:           4
        .value_kind:     hidden_block_count_y
      - .offset:         72
        .size:           4
        .value_kind:     hidden_block_count_z
      - .offset:         76
        .size:           2
        .value_kind:     hidden_group_size_x
      - .offset:         78
        .size:           2
        .value_kind:     hidden_group_size_y
      - .offset:         80
        .size:           2
        .value_kind:     hidden_group_size_z
      - .offset:         82
        .size:           2
        .value_kind:     hidden_remainder_x
      - .offset:         84
        .size:           2
        .value_kind:     hidden_remainder_y
      - .offset:         86
        .size:           2
        .value_kind:     hidden_remainder_z
      - .offset:         104
        .size:           8
        .value_kind:     hidden_global_offset_x
      - .offset:         112
        .size:           8
        .value_kind:     hidden_global_offset_y
      - .offset:         120
        .size:           8
        .value_kind:     hidden_global_offset_z
      - .offset:         128
        .size:           2
        .value_kind:     hidden_grid_dims
    .group_segment_fixed_size: 0
    .kernarg_segment_align: 8
    .kernarg_segment_size: 320
    .language:       OpenCL C
    .language_version:
      - 2
      - 0
    .max_flat_workgroup_size: 1024
    .name:           _ZN2at6native12_GLOBAL__N_126nll_loss2d_backward_kernelIfEEvPT_PKS3_PKlS6_S6_biiil
    .private_segment_fixed_size: 0
    .sgpr_count:     29
    .sgpr_spill_count: 0
    .symbol:         _ZN2at6native12_GLOBAL__N_126nll_loss2d_backward_kernelIfEEvPT_PKS3_PKlS6_S6_biiil.kd
    .uniform_work_group_size: 1
    .uses_dynamic_stack: false
    .vgpr_count:     12
    .vgpr_spill_count: 0
    .wavefront_size: 32
    .workgroup_processor_mode: 1
  - .args:
      - .address_space:  global
        .offset:         0
        .size:           8
        .value_kind:     global_buffer
      - .address_space:  global
        .offset:         8
        .size:           8
        .value_kind:     global_buffer
      - .address_space:  global
        .offset:         16
        .size:           8
        .value_kind:     global_buffer
      - .address_space:  global
        .offset:         24
        .size:           8
        .value_kind:     global_buffer
      - .address_space:  global
        .offset:         32
        .size:           8
        .value_kind:     global_buffer
      - .offset:         40
        .size:           1
        .value_kind:     by_value
      - .offset:         44
        .size:           4
        .value_kind:     by_value
      - .offset:         48
        .size:           4
        .value_kind:     by_value
      - .offset:         52
        .size:           4
        .value_kind:     by_value
      - .offset:         56
        .size:           8
        .value_kind:     by_value
      - .offset:         64
        .size:           4
        .value_kind:     hidden_block_count_x
      - .offset:         68
        .size:           4
        .value_kind:     hidden_block_count_y
      - .offset:         72
        .size:           4
        .value_kind:     hidden_block_count_z
      - .offset:         76
        .size:           2
        .value_kind:     hidden_group_size_x
      - .offset:         78
        .size:           2
        .value_kind:     hidden_group_size_y
      - .offset:         80
        .size:           2
        .value_kind:     hidden_group_size_z
      - .offset:         82
        .size:           2
        .value_kind:     hidden_remainder_x
      - .offset:         84
        .size:           2
        .value_kind:     hidden_remainder_y
      - .offset:         86
        .size:           2
        .value_kind:     hidden_remainder_z
      - .offset:         104
        .size:           8
        .value_kind:     hidden_global_offset_x
      - .offset:         112
        .size:           8
        .value_kind:     hidden_global_offset_y
      - .offset:         120
        .size:           8
        .value_kind:     hidden_global_offset_z
      - .offset:         128
        .size:           2
        .value_kind:     hidden_grid_dims
    .group_segment_fixed_size: 0
    .kernarg_segment_align: 8
    .kernarg_segment_size: 320
    .language:       OpenCL C
    .language_version:
      - 2
      - 0
    .max_flat_workgroup_size: 1024
    .name:           _ZN2at6native12_GLOBAL__N_126nll_loss2d_backward_kernelIN3c104HalfEEEvPT_PKS5_PKlS8_S8_biiil
    .private_segment_fixed_size: 0
    .sgpr_count:     29
    .sgpr_spill_count: 0
    .symbol:         _ZN2at6native12_GLOBAL__N_126nll_loss2d_backward_kernelIN3c104HalfEEEvPT_PKS5_PKlS8_S8_biiil.kd
    .uniform_work_group_size: 1
    .uses_dynamic_stack: false
    .vgpr_count:     12
    .vgpr_spill_count: 0
    .wavefront_size: 32
    .workgroup_processor_mode: 1
  - .args:
      - .address_space:  global
        .offset:         0
        .size:           8
        .value_kind:     global_buffer
      - .address_space:  global
        .offset:         8
        .size:           8
        .value_kind:     global_buffer
      - .address_space:  global
        .offset:         16
        .size:           8
        .value_kind:     global_buffer
      - .address_space:  global
        .offset:         24
        .size:           8
        .value_kind:     global_buffer
      - .address_space:  global
        .offset:         32
        .size:           8
        .value_kind:     global_buffer
      - .offset:         40
        .size:           1
        .value_kind:     by_value
      - .offset:         44
        .size:           4
        .value_kind:     by_value
      - .offset:         48
        .size:           4
        .value_kind:     by_value
      - .offset:         52
        .size:           4
        .value_kind:     by_value
      - .offset:         56
        .size:           8
        .value_kind:     by_value
      - .offset:         64
        .size:           4
        .value_kind:     hidden_block_count_x
      - .offset:         68
        .size:           4
        .value_kind:     hidden_block_count_y
      - .offset:         72
        .size:           4
        .value_kind:     hidden_block_count_z
      - .offset:         76
        .size:           2
        .value_kind:     hidden_group_size_x
      - .offset:         78
        .size:           2
        .value_kind:     hidden_group_size_y
      - .offset:         80
        .size:           2
        .value_kind:     hidden_group_size_z
      - .offset:         82
        .size:           2
        .value_kind:     hidden_remainder_x
      - .offset:         84
        .size:           2
        .value_kind:     hidden_remainder_y
      - .offset:         86
        .size:           2
        .value_kind:     hidden_remainder_z
      - .offset:         104
        .size:           8
        .value_kind:     hidden_global_offset_x
      - .offset:         112
        .size:           8
        .value_kind:     hidden_global_offset_y
      - .offset:         120
        .size:           8
        .value_kind:     hidden_global_offset_z
      - .offset:         128
        .size:           2
        .value_kind:     hidden_grid_dims
    .group_segment_fixed_size: 0
    .kernarg_segment_align: 8
    .kernarg_segment_size: 320
    .language:       OpenCL C
    .language_version:
      - 2
      - 0
    .max_flat_workgroup_size: 1024
    .name:           _ZN2at6native12_GLOBAL__N_126nll_loss2d_backward_kernelIN3c108BFloat16EEEvPT_PKS5_PKlS8_S8_biiil
    .private_segment_fixed_size: 0
    .sgpr_count:     31
    .sgpr_spill_count: 0
    .symbol:         _ZN2at6native12_GLOBAL__N_126nll_loss2d_backward_kernelIN3c108BFloat16EEEvPT_PKS5_PKlS8_S8_biiil.kd
    .uniform_work_group_size: 1
    .uses_dynamic_stack: false
    .vgpr_count:     11
    .vgpr_spill_count: 0
    .wavefront_size: 32
    .workgroup_processor_mode: 1
amdhsa.target:   amdgcn-amd-amdhsa--gfx1030
amdhsa.version:
  - 1
  - 2
...

	.end_amdgpu_metadata
